;; amdgpu-corpus repo=ROCm/aiter kind=harvested arch=n/a opt=n/a

/root/src/amdgpu-assembly/repos/ROCm__aiter/hsa/gfx942/topksoftmax/topksoftmax_12x128x6_bf16.co:	file format elf64-amdgpu

Disassembly of section .text:

0000000000001c00 <_ZN5aiter25topksoftmax_12x128x6_bf16E>:
	s_and_b32 s1, s1, 0xffff                                   // 000000001C00: 8601FF01 0000FFFF
	s_load_dwordx2 s[4:5], s[0:1], 0x0                         // 000000001C08: C0060100 00000000
	s_load_dwordx2 s[8:9], s[0:1], 0x10                        // 000000001C10: C0060200 00000010
	s_load_dwordx2 s[12:13], s[0:1], 0x20                      // 000000001C18: C0060300 00000020
	s_load_dword s16, s[0:1], 0x30                             // 000000001C20: C0020400 00000030
	s_load_dword s17, s[0:1], 0x40                             // 000000001C28: C0020440 00000040
	s_load_dword s18, s[0:1], 0x50                             // 000000001C30: C0020480 00000050
	s_load_dword s68, s[0:1], 0x60                             // 000000001C38: C0021100 00000060
	s_load_dword s69, s[0:1], 0x70                             // 000000001C40: C0021140 00000070
	v_lshrrev_b32_e32 v1, 10, v0                               // 000000001C48: 2002008A
	v_lshrrev_b32_e32 v2, 10, v1                               // 000000001C4C: 2004028A
	v_and_b32_e32 v2, 0x3ff, v2                                // 000000001C50: 260404FF 000003FF
	v_and_b32_e32 v1, 0x3ff, v1                                // 000000001C58: 260202FF 000003FF
	v_and_b32_e32 v0, 0x3ff, v0                                // 000000001C60: 260000FF 000003FF
	v_lshrrev_b32_e32 v3, 6, v0                                // 000000001C68: 20060086
	v_and_b32_e32 v0, 63, v0                                   // 000000001C6C: 260000BF
	s_mov_b32 s19, s2                                          // 000000001C70: BE930002
	v_readfirstlane_b32 s66, v3                                // 000000001C74: 7E840503
	s_waitcnt lgkmcnt(0)                                       // 000000001C78: BF8CC07F
	s_mov_b32 s6, -16                                          // 000000001C7C: BE8600D0
	s_mov_b32 s10, -16                                         // 000000001C80: BE8A00D0
	s_mov_b32 s14, -16                                         // 000000001C84: BE8E00D0
	s_mov_b32 s7, 0x20000                                      // 000000001C88: BE8700FF 00020000
	s_mov_b32 s11, 0x20000                                     // 000000001C90: BE8B00FF 00020000
	s_mov_b32 s15, 0x20000                                     // 000000001C98: BE8F00FF 00020000
	s_and_b32 s5, s5, 0xffff                                   // 000000001CA0: 8605FF05 0000FFFF
	s_and_b32 s9, s9, 0xffff                                   // 000000001CA8: 8609FF09 0000FFFF
	s_and_b32 s13, s13, 0xffff                                 // 000000001CB0: 860DFF0D 0000FFFF
	s_or_b32 s5, s5, 0x40000                                   // 000000001CB8: 8705FF05 00040000
	s_or_b32 s9, s9, 0x40000                                   // 000000001CC0: 8709FF09 00040000
	s_or_b32 s13, s13, 0x40000                                 // 000000001CC8: 870DFF0D 00040000
	s_mul_i32 s20, s16, s17                                    // 000000001CD0: 92141110
	s_mul_i32 s20, s20, 2                                      // 000000001CD4: 92148214
	s_mov_b32 s14, s20                                         // 000000001CD8: BE8E0014
	v_lshlrev_b32_e32 v8, 1, v0                                // 000000001CDC: 24100081
	s_mul_i32 s20, s17, 2                                      // 000000001CE0: 92148211
	s_mul_i32 s21, s19, 12                                     // 000000001CE4: 92158C13
	s_add_i32 s21, s21, s66                                    // 000000001CE8: 81154215
	s_mul_i32 s22, s20, s21                                    // 000000001CEC: 92161514
	v_add_u32_e32 v8, s22, v8                                  // 000000001CF0: 68101016
	s_mul_i32 s23, s20, 4                                      // 000000001CF4: 92178414
	v_add_u32_e32 v9, s23, v8                                  // 000000001CF8: 68121017
	v_add_u32_e32 v10, s23, v9                                 // 000000001CFC: 68141217
	buffer_load_short_d16 v17, v8, s[12:15], 0 offen           // 000000001D00: E0901000 80031108
	buffer_load_short_d16 v18, v8, s[12:15], 0 offen offset:128// 000000001D08: E0901080 80031208
	buffer_load_short_d16 v19, v9, s[12:15], 0 offen           // 000000001D10: E0901000 80031309
	buffer_load_short_d16 v20, v9, s[12:15], 0 offen offset:128// 000000001D18: E0901080 80031409
	buffer_load_short_d16 v21, v10, s[12:15], 0 offen          // 000000001D20: E0901000 8003150A
	buffer_load_short_d16 v22, v10, s[12:15], 0 offen offset:128// 000000001D28: E0901080 8003160A
	v_mov_b32_e32 v29, 0                                       // 000000001D30: 7E3A0280
	v_mov_b32_e32 v30, 0                                       // 000000001D34: 7E3C0280
	v_mov_b32_e32 v31, 0                                       // 000000001D38: 7E3E0280
	v_mov_b32_e32 v32, 0                                       // 000000001D3C: 7E400280
	v_mov_b32_e32 v33, 0                                       // 000000001D40: 7E420280
	v_mov_b32_e32 v34, 0                                       // 000000001D44: 7E440280
	v_mov_b32_e32 v35, 0                                       // 000000001D48: 7E460280
	v_mov_b32_e32 v36, 0                                       // 000000001D4C: 7E480280
	v_mov_b32_e32 v37, 0                                       // 000000001D50: 7E4A0280
	v_mov_b32_e32 v38, 0                                       // 000000001D54: 7E4C0280
	v_mov_b32_e32 v39, 0                                       // 000000001D58: 7E4E0280
	v_mov_b32_e32 v40, 0                                       // 000000001D5C: 7E500280
	v_mov_b32_e32 v23, 0                                       // 000000001D60: 7E2E0280
	v_mov_b32_e32 v24, 0                                       // 000000001D64: 7E300280
	v_mov_b32_e32 v25, 0                                       // 000000001D68: 7E320280
	v_mov_b32_e32 v26, 0                                       // 000000001D6C: 7E340280
	v_mov_b32_e32 v27, 0                                       // 000000001D70: 7E360280
	v_mov_b32_e32 v28, 0                                       // 000000001D74: 7E380280
	v_mov_b32_e32 v41, 0                                       // 000000001D78: 7E520280
	v_mov_b32_e32 v42, 0                                       // 000000001D7C: 7E540280
	v_mov_b32_e32 v43, 0                                       // 000000001D80: 7E560280
	s_mov_b32 s18, 6                                           // 000000001D84: BE920086
	v_lshlrev_b32_e32 v11, 2, v0                               // 000000001D88: 24160082
	s_mov_b32 s20, s69                                         // 000000001D8C: BE940045
	s_mul_i32 s21, s19, 12                                     // 000000001D90: 92158C13
	s_add_i32 s21, s21, s66                                    // 000000001D94: 81154215
	s_mul_i32 s22, s20, s21                                    // 000000001D98: 92161514
	v_add_u32_e32 v11, s22, v11                                // 000000001D9C: 68161616
	s_mul_i32 s23, s20, 4                                      // 000000001DA0: 92178414
	v_add_u32_e32 v12, s23, v11                                // 000000001DA4: 68181617
	v_add_u32_e32 v13, s23, v12                                // 000000001DA8: 681A1817
	v_mov_b32_e32 v14, v11                                     // 000000001DAC: 7E1C030B
	v_mov_b32_e32 v15, v12                                     // 000000001DB0: 7E1E030C
	v_mov_b32_e32 v16, v13                                     // 000000001DB4: 7E20030D
	s_mul_i32 s20, s16, s69                                    // 000000001DB8: 92144510
	s_mov_b32 s6, s20                                          // 000000001DBC: BE860014
	s_mov_b32 s10, s20                                         // 000000001DC0: BE8A0014
	s_mov_b32 s67, 0x3fb8aa3b                                  // 000000001DC4: BEC300FF 3FB8AA3B
	s_mov_b32 s48, 0                                           // 000000001DCC: BEB00080
	s_mov_b32 s49, 0                                           // 000000001DD0: BEB10080
	s_mov_b32 s50, 0                                           // 000000001DD4: BEB20080
	s_mov_b32 s51, 0                                           // 000000001DD8: BEB30080
	s_mov_b32 s52, 0                                           // 000000001DDC: BEB40080
	s_mov_b32 s53, 0                                           // 000000001DE0: BEB50080
	s_mov_b32 s54, 0                                           // 000000001DE4: BEB60080
	s_mov_b32 s55, 0                                           // 000000001DE8: BEB70080
	s_mov_b32 s56, 0                                           // 000000001DEC: BEB80080
	s_mov_b32 s57, 0                                           // 000000001DF0: BEB90080
	s_mov_b32 s58, 0                                           // 000000001DF4: BEBA0080
	s_mov_b32 s59, 0                                           // 000000001DF8: BEBB0080
	s_mov_b32 s60, 0                                           // 000000001DFC: BEBC0080
	s_mov_b32 s61, 0                                           // 000000001E00: BEBD0080
	s_mov_b32 s62, 0                                           // 000000001E04: BEBE0080
	s_mov_b32 s63, 0                                           // 000000001E08: BEBF0080
	s_mov_b32 s64, 0                                           // 000000001E0C: BEC00080
	s_mov_b32 s65, 0                                           // 000000001E10: BEC10080
	s_waitcnt vmcnt(0) expcnt(0) lgkmcnt(0)                    // 000000001E14: BF8C0000
	v_lshlrev_b32_e32 v17, 16, v17                             // 000000001E18: 24222290
	v_lshlrev_b32_e32 v18, 16, v18                             // 000000001E1C: 24242490
	v_lshlrev_b32_e32 v19, 16, v19                             // 000000001E20: 24262690
	v_lshlrev_b32_e32 v20, 16, v20                             // 000000001E24: 24282890
	v_lshlrev_b32_e32 v21, 16, v21                             // 000000001E28: 242A2A90
	v_lshlrev_b32_e32 v22, 16, v22                             // 000000001E2C: 242C2C90
	v_mul_f32_e64 v17, v17, s67                                // 000000001E30: D1050011 00008711
	v_exp_f32_e32 v17, v17                                     // 000000001E38: 7E224111
	v_mul_f32_e64 v18, v18, s67                                // 000000001E3C: D1050012 00008712
	v_exp_f32_e32 v18, v18                                     // 000000001E44: 7E244112
	v_mul_f32_e64 v19, v19, s67                                // 000000001E48: D1050013 00008713
	v_exp_f32_e32 v19, v19                                     // 000000001E50: 7E264113
	v_mul_f32_e64 v20, v20, s67                                // 000000001E54: D1050014 00008714
	v_exp_f32_e32 v20, v20                                     // 000000001E5C: 7E284114
	v_mul_f32_e64 v21, v21, s67                                // 000000001E60: D1050015 00008715
	v_exp_f32_e32 v21, v21                                     // 000000001E68: 7E2A4115
	v_mul_f32_e64 v22, v22, s67                                // 000000001E6C: D1050016 00008716
	v_exp_f32_e32 v22, v22                                     // 000000001E74: 7E2C4116
	v_add_f32_e32 v29, v29, v17                                // 000000001E78: 023A231D
	v_add_f32_e32 v29, v29, v18                                // 000000001E7C: 023A251D
	v_add_f32_e32 v31, v31, v19                                // 000000001E80: 023E271F
	v_add_f32_e32 v31, v31, v20                                // 000000001E84: 023E291F
	v_add_f32_e32 v33, v33, v21                                // 000000001E88: 02422B21
	v_add_f32_e32 v33, v33, v22                                // 000000001E8C: 02422D21
	v_add_f32_dpp v4, v29, v29 quad_perm:[1,0,3,2] row_mask:0xf bank_mask:0xf// 000000001E90: 02083AFA FF00B11D
	v_add_f32_dpp v5, v31, v31 quad_perm:[1,0,3,2] row_mask:0xf bank_mask:0xf// 000000001E98: 020A3EFA FF00B11F
	v_add_f32_dpp v6, v33, v33 quad_perm:[1,0,3,2] row_mask:0xf bank_mask:0xf// 000000001EA0: 020C42FA FF00B121
	v_add_f32_dpp v4, v4, v4 quad_perm:[2,3,0,1] row_mask:0xf bank_mask:0xf// 000000001EA8: 020808FA FF004E04
	v_add_f32_dpp v5, v5, v5 quad_perm:[2,3,0,1] row_mask:0xf bank_mask:0xf// 000000001EB0: 020A0AFA FF004E05
	v_add_f32_dpp v6, v6, v6 quad_perm:[2,3,0,1] row_mask:0xf bank_mask:0xf// 000000001EB8: 020C0CFA FF004E06
	v_add_f32_dpp v4, v4, v4 row_shr:4 row_mask:0xf bank_mask:0xf// 000000001EC0: 020808FA FF011404
	v_add_f32_dpp v5, v5, v5 row_shr:4 row_mask:0xf bank_mask:0xf// 000000001EC8: 020A0AFA FF011405
	v_add_f32_dpp v6, v6, v6 row_shr:4 row_mask:0xf bank_mask:0xf// 000000001ED0: 020C0CFA FF011406
	v_add_f32_dpp v4, v4, v4 row_shr:8 row_mask:0xf bank_mask:0xf// 000000001ED8: 020808FA FF011804
	v_add_f32_dpp v5, v5, v5 row_shr:8 row_mask:0xf bank_mask:0xf// 000000001EE0: 020A0AFA FF011805
	v_add_f32_dpp v6, v6, v6 row_shr:8 row_mask:0xf bank_mask:0xf// 000000001EE8: 020C0CFA FF011806
	v_add_f32_dpp v4, v4, v4 row_bcast:15 row_mask:0xf bank_mask:0xf// 000000001EF0: 020808FA FF014204
	v_add_f32_dpp v5, v5, v5 row_bcast:15 row_mask:0xf bank_mask:0xf// 000000001EF8: 020A0AFA FF014205
	v_add_f32_dpp v6, v6, v6 row_bcast:15 row_mask:0xf bank_mask:0xf// 000000001F00: 020C0CFA FF014206
	v_add_f32_dpp v4, v4, v4 row_bcast:31 row_mask:0xf bank_mask:0xf// 000000001F08: 020808FA FF014304
	v_add_f32_dpp v5, v5, v5 row_bcast:31 row_mask:0xf bank_mask:0xf// 000000001F10: 020A0AFA FF014305
	v_add_f32_dpp v6, v6, v6 row_bcast:31 row_mask:0xf bank_mask:0xf// 000000001F18: 020C0CFA FF014306
	v_readlane_b32 s20, v4, 63                                 // 000000001F20: D2890014 00017F04
	v_mov_b32_e32 v30, s20                                     // 000000001F28: 7E3C0214
	v_readlane_b32 s21, v5, 63                                 // 000000001F2C: D2890015 00017F05
	v_mov_b32_e32 v32, s21                                     // 000000001F34: 7E400215
	v_readlane_b32 s22, v6, 63                                 // 000000001F38: D2890016 00017F06
	v_mov_b32_e32 v34, s22                                     // 000000001F40: 7E440216
	v_rcp_f32_e32 v29, v30                                     // 000000001F44: 7E3A451E
	v_rcp_f32_e32 v31, v32                                     // 000000001F48: 7E3E4520
	v_rcp_f32_e32 v33, v34                                     // 000000001F4C: 7E424522
	v_mul_f32_e32 v17, v17, v29                                // 000000001F50: 0A223B11
	v_mul_f32_e32 v18, v18, v29                                // 000000001F54: 0A243B12
	v_mul_f32_e32 v19, v19, v31                                // 000000001F58: 0A263F13
	v_mul_f32_e32 v20, v20, v31                                // 000000001F5C: 0A283F14
	v_mul_f32_e32 v21, v21, v33                                // 000000001F60: 0A2A4315
	v_mul_f32_e32 v22, v22, v33                                // 000000001F64: 0A2C4316
	s_cmp_eq_u32 s68, 0                                        // 000000001F68: BF068044
	s_cbranch_scc0 label_0402                                  // 000000001F6C: BF840326
	v_max_f32_e32 v35, v17, v18                                // 000000001F70: 16462511
	v_max_f32_e32 v36, v19, v20                                // 000000001F74: 16482913
	v_max_f32_e32 v37, v21, v22                                // 000000001F78: 164A2D15
	v_max_f32_dpp v4, v35, v35 quad_perm:[1,0,3,2] row_mask:0xf bank_mask:0xf// 000000001F7C: 160846FA FF00B123
	v_max_f32_dpp v5, v36, v36 quad_perm:[1,0,3,2] row_mask:0xf bank_mask:0xf// 000000001F84: 160A48FA FF00B124
	v_max_f32_dpp v6, v37, v37 quad_perm:[1,0,3,2] row_mask:0xf bank_mask:0xf// 000000001F8C: 160C4AFA FF00B125
	v_max_f32_dpp v4, v4, v4 quad_perm:[2,3,0,1] row_mask:0xf bank_mask:0xf// 000000001F94: 160808FA FF004E04
	v_max_f32_dpp v5, v5, v5 quad_perm:[2,3,0,1] row_mask:0xf bank_mask:0xf// 000000001F9C: 160A0AFA FF004E05
	v_max_f32_dpp v6, v6, v6 quad_perm:[2,3,0,1] row_mask:0xf bank_mask:0xf// 000000001FA4: 160C0CFA FF004E06
	v_max_f32_dpp v4, v4, v4 row_shr:4 row_mask:0xf bank_mask:0xf// 000000001FAC: 160808FA FF011404
	v_max_f32_dpp v5, v5, v5 row_shr:4 row_mask:0xf bank_mask:0xf// 000000001FB4: 160A0AFA FF011405
	v_max_f32_dpp v6, v6, v6 row_shr:4 row_mask:0xf bank_mask:0xf// 000000001FBC: 160C0CFA FF011406
	v_max_f32_dpp v4, v4, v4 row_shr:8 row_mask:0xf bank_mask:0xf// 000000001FC4: 160808FA FF011804
	v_max_f32_dpp v5, v5, v5 row_shr:8 row_mask:0xf bank_mask:0xf// 000000001FCC: 160A0AFA FF011805
	v_max_f32_dpp v6, v6, v6 row_shr:8 row_mask:0xf bank_mask:0xf// 000000001FD4: 160C0CFA FF011806
	v_max_f32_dpp v4, v4, v4 row_bcast:15 row_mask:0xf bank_mask:0xf// 000000001FDC: 160808FA FF014204
	v_max_f32_dpp v5, v5, v5 row_bcast:15 row_mask:0xf bank_mask:0xf// 000000001FE4: 160A0AFA FF014205
	v_max_f32_dpp v6, v6, v6 row_bcast:15 row_mask:0xf bank_mask:0xf// 000000001FEC: 160C0CFA FF014206
	v_max_f32_dpp v4, v4, v4 row_bcast:31 row_mask:0xf bank_mask:0xf// 000000001FF4: 160808FA FF014304
	v_max_f32_dpp v5, v5, v5 row_bcast:31 row_mask:0xf bank_mask:0xf// 000000001FFC: 160A0AFA FF014305
	v_max_f32_dpp v6, v6, v6 row_bcast:31 row_mask:0xf bank_mask:0xf// 000000002004: 160C0CFA FF014306
	v_readlane_b32 s20, v4, 63                                 // 00000000200C: D2890014 00017F04
	v_mov_b32_e32 v35, s20                                     // 000000002014: 7E460214
	v_readlane_b32 s21, v5, 63                                 // 000000002018: D2890015 00017F05
	v_mov_b32_e32 v36, s21                                     // 000000002020: 7E480215
	v_readlane_b32 s22, v6, 63                                 // 000000002024: D2890016 00017F06
	v_mov_b32_e32 v37, s22                                     // 00000000202C: 7E4A0216
	v_cmp_eq_f32_e64 s[24:25], v35, v17                        // 000000002030: D0420018 00022323
	v_cmp_eq_f32_e64 s[26:27], v35, v18                        // 000000002038: D042001A 00022523
	s_ff1_i32_b64 s36, s[24:25]                                // 000000002040: BEA41118
	s_ff1_i32_b64 s37, s[26:27]                                // 000000002044: BEA5111A
	v_cmp_eq_f32_e64 s[28:29], v36, v19                        // 000000002048: D042001C 00022724
	v_cmp_eq_f32_e64 s[30:31], v36, v20                        // 000000002050: D042001E 00022924
	s_ff1_i32_b64 s38, s[28:29]                                // 000000002058: BEA6111C
	s_ff1_i32_b64 s39, s[30:31]                                // 00000000205C: BEA7111E
	v_cmp_eq_f32_e64 s[32:33], v37, v21                        // 000000002060: D0420020 00022B25
	v_cmp_eq_f32_e64 s[34:35], v37, v22                        // 000000002068: D0420022 00022D25
	s_ff1_i32_b64 s40, s[32:33]                                // 000000002070: BEA81120
	s_ff1_i32_b64 s41, s[34:35]                                // 000000002074: BEA91122
	v_readlane_b32 s20, v35, 0                                 // 000000002078: D2890014 00010123
	v_writelane_b32 v26, s20, 0                                // 000000002080: D28A001A 00010014
	v_readlane_b32 s21, v36, 0                                 // 000000002088: D2890015 00010124
	v_writelane_b32 v27, s21, 0                                // 000000002090: D28A001B 00010015
	v_readlane_b32 s22, v37, 0                                 // 000000002098: D2890016 00010125
	v_writelane_b32 v28, s22, 0                                // 0000000020A0: D28A001C 00010016
	s_mov_b32 s22, s36                                         // 0000000020A8: BE960024
	s_cmp_eq_u32 s36, -1                                       // 0000000020AC: BF06C124
	s_cselect_b32 s21, 1, 0                                    // 0000000020B0: 85158081
	s_cbranch_scc0 label_0134                                  // 0000000020B4: BF840006
	s_add_u32 s48, s21, s48                                    // 0000000020B8: 80303015
	s_mov_b32 s22, s37                                         // 0000000020BC: BE960025
	s_cmp_eq_u32 s37, -1                                       // 0000000020C0: BF06C125
	s_cselect_b32 s21, 1, 0                                    // 0000000020C4: 85158081
	s_cbranch_scc0 label_0134                                  // 0000000020C8: BF840001
	s_add_u32 s48, s21, s48                                    // 0000000020CC: 80303015

00000000000020d0 <label_0134>:
	s_set_gpr_idx_on s48, gpr_idx(DST)                         // 0000000020D0: BF110830
	v_writelane_b32 v17, 0, s22                                // 0000000020D4: D28A0011 00002C80
	s_set_gpr_idx_off                                          // 0000000020DC: BF9C0000
	s_mul_i32 s48, 64, s48                                     // 0000000020E0: 923030C0
	s_add_u32 s48, s22, s48                                    // 0000000020E4: 80303016
	v_writelane_b32 v23, s48, 0                                // 0000000020E8: D28A0017 00010030
	s_mov_b32 s22, s38                                         // 0000000020F0: BE960026
	s_cmp_eq_u32 s38, -1                                       // 0000000020F4: BF06C126
	s_cselect_b32 s21, 1, 0                                    // 0000000020F8: 85158081
	s_cbranch_scc0 label_0146                                  // 0000000020FC: BF840006
	s_add_u32 s54, s21, s54                                    // 000000002100: 80363615
	s_mov_b32 s22, s39                                         // 000000002104: BE960027
	s_cmp_eq_u32 s39, -1                                       // 000000002108: BF06C127
	s_cselect_b32 s21, 1, 0                                    // 00000000210C: 85158081
	s_cbranch_scc0 label_0146                                  // 000000002110: BF840001
	s_add_u32 s54, s21, s54                                    // 000000002114: 80363615

0000000000002118 <label_0146>:
	s_set_gpr_idx_on s54, gpr_idx(DST)                         // 000000002118: BF110836
	v_writelane_b32 v19, 0, s22                                // 00000000211C: D28A0013 00002C80
	s_set_gpr_idx_off                                          // 000000002124: BF9C0000
	s_mul_i32 s54, 64, s54                                     // 000000002128: 923636C0
	s_add_u32 s54, s22, s54                                    // 00000000212C: 80363616
	v_writelane_b32 v24, s54, 0                                // 000000002130: D28A0018 00010036
	s_mov_b32 s22, s40                                         // 000000002138: BE960028
	s_cmp_eq_u32 s40, -1                                       // 00000000213C: BF06C128
	s_cselect_b32 s21, 1, 0                                    // 000000002140: 85158081
	s_cbranch_scc0 label_0158                                  // 000000002144: BF840006
	s_add_u32 s60, s21, s60                                    // 000000002148: 803C3C15
	s_mov_b32 s22, s41                                         // 00000000214C: BE960029
	s_cmp_eq_u32 s41, -1                                       // 000000002150: BF06C129
	s_cselect_b32 s21, 1, 0                                    // 000000002154: 85158081
	s_cbranch_scc0 label_0158                                  // 000000002158: BF840001
	s_add_u32 s60, s21, s60                                    // 00000000215C: 803C3C15

0000000000002160 <label_0158>:
	s_set_gpr_idx_on s60, gpr_idx(DST)                         // 000000002160: BF11083C
	v_writelane_b32 v21, 0, s22                                // 000000002164: D28A0015 00002C80
	s_set_gpr_idx_off                                          // 00000000216C: BF9C0000
	s_mul_i32 s60, 64, s60                                     // 000000002170: 923C3CC0
	s_add_u32 s60, s22, s60                                    // 000000002174: 803C3C16
	v_writelane_b32 v25, s60, 0                                // 000000002178: D28A0019 0001003C
	v_max_f32_e32 v35, v17, v18                                // 000000002180: 16462511
	v_max_f32_e32 v36, v19, v20                                // 000000002184: 16482913
	v_max_f32_e32 v37, v21, v22                                // 000000002188: 164A2D15
	v_max_f32_dpp v4, v35, v35 quad_perm:[1,0,3,2] row_mask:0xf bank_mask:0xf// 00000000218C: 160846FA FF00B123
	v_max_f32_dpp v5, v36, v36 quad_perm:[1,0,3,2] row_mask:0xf bank_mask:0xf// 000000002194: 160A48FA FF00B124
	v_max_f32_dpp v6, v37, v37 quad_perm:[1,0,3,2] row_mask:0xf bank_mask:0xf// 00000000219C: 160C4AFA FF00B125
	v_max_f32_dpp v4, v4, v4 quad_perm:[2,3,0,1] row_mask:0xf bank_mask:0xf// 0000000021A4: 160808FA FF004E04
	v_max_f32_dpp v5, v5, v5 quad_perm:[2,3,0,1] row_mask:0xf bank_mask:0xf// 0000000021AC: 160A0AFA FF004E05
	v_max_f32_dpp v6, v6, v6 quad_perm:[2,3,0,1] row_mask:0xf bank_mask:0xf// 0000000021B4: 160C0CFA FF004E06
	v_max_f32_dpp v4, v4, v4 row_shr:4 row_mask:0xf bank_mask:0xf// 0000000021BC: 160808FA FF011404
	v_max_f32_dpp v5, v5, v5 row_shr:4 row_mask:0xf bank_mask:0xf// 0000000021C4: 160A0AFA FF011405
	v_max_f32_dpp v6, v6, v6 row_shr:4 row_mask:0xf bank_mask:0xf// 0000000021CC: 160C0CFA FF011406
	v_max_f32_dpp v4, v4, v4 row_shr:8 row_mask:0xf bank_mask:0xf// 0000000021D4: 160808FA FF011804
	v_max_f32_dpp v5, v5, v5 row_shr:8 row_mask:0xf bank_mask:0xf// 0000000021DC: 160A0AFA FF011805
	v_max_f32_dpp v6, v6, v6 row_shr:8 row_mask:0xf bank_mask:0xf// 0000000021E4: 160C0CFA FF011806
	v_max_f32_dpp v4, v4, v4 row_bcast:15 row_mask:0xf bank_mask:0xf// 0000000021EC: 160808FA FF014204
	v_max_f32_dpp v5, v5, v5 row_bcast:15 row_mask:0xf bank_mask:0xf// 0000000021F4: 160A0AFA FF014205
	v_max_f32_dpp v6, v6, v6 row_bcast:15 row_mask:0xf bank_mask:0xf// 0000000021FC: 160C0CFA FF014206
	v_max_f32_dpp v4, v4, v4 row_bcast:31 row_mask:0xf bank_mask:0xf// 000000002204: 160808FA FF014304
	v_max_f32_dpp v5, v5, v5 row_bcast:31 row_mask:0xf bank_mask:0xf// 00000000220C: 160A0AFA FF014305
	v_max_f32_dpp v6, v6, v6 row_bcast:31 row_mask:0xf bank_mask:0xf// 000000002214: 160C0CFA FF014306
	v_readlane_b32 s20, v4, 63                                 // 00000000221C: D2890014 00017F04
	v_mov_b32_e32 v35, s20                                     // 000000002224: 7E460214
	v_readlane_b32 s21, v5, 63                                 // 000000002228: D2890015 00017F05
	v_mov_b32_e32 v36, s21                                     // 000000002230: 7E480215
	v_readlane_b32 s22, v6, 63                                 // 000000002234: D2890016 00017F06
	v_mov_b32_e32 v37, s22                                     // 00000000223C: 7E4A0216
	v_cmp_eq_f32_e64 s[24:25], v35, v17                        // 000000002240: D0420018 00022323
	v_cmp_eq_f32_e64 s[26:27], v35, v18                        // 000000002248: D042001A 00022523
	s_ff1_i32_b64 s36, s[24:25]                                // 000000002250: BEA41118
	s_ff1_i32_b64 s37, s[26:27]                                // 000000002254: BEA5111A
	v_cmp_eq_f32_e64 s[28:29], v36, v19                        // 000000002258: D042001C 00022724
	v_cmp_eq_f32_e64 s[30:31], v36, v20                        // 000000002260: D042001E 00022924
	s_ff1_i32_b64 s38, s[28:29]                                // 000000002268: BEA6111C
	s_ff1_i32_b64 s39, s[30:31]                                // 00000000226C: BEA7111E
	v_cmp_eq_f32_e64 s[32:33], v37, v21                        // 000000002270: D0420020 00022B25
	v_cmp_eq_f32_e64 s[34:35], v37, v22                        // 000000002278: D0420022 00022D25
	s_ff1_i32_b64 s40, s[32:33]                                // 000000002280: BEA81120
	s_ff1_i32_b64 s41, s[34:35]                                // 000000002284: BEA91122
	v_readlane_b32 s20, v35, 0                                 // 000000002288: D2890014 00010123
	v_writelane_b32 v26, s20, 1                                // 000000002290: D28A001A 00010214
	v_readlane_b32 s21, v36, 0                                 // 000000002298: D2890015 00010124
	v_writelane_b32 v27, s21, 1                                // 0000000022A0: D28A001B 00010215
	v_readlane_b32 s22, v37, 0                                 // 0000000022A8: D2890016 00010125
	v_writelane_b32 v28, s22, 1                                // 0000000022B0: D28A001C 00010216
	s_mov_b32 s22, s36                                         // 0000000022B8: BE960024
	s_cmp_eq_u32 s36, -1                                       // 0000000022BC: BF06C124
	s_cselect_b32 s21, 1, 0                                    // 0000000022C0: 85158081
	s_cbranch_scc0 label_01B8                                  // 0000000022C4: BF840006
	s_add_u32 s49, s21, s49                                    // 0000000022C8: 80313115
	s_mov_b32 s22, s37                                         // 0000000022CC: BE960025
	s_cmp_eq_u32 s37, -1                                       // 0000000022D0: BF06C125
	s_cselect_b32 s21, 1, 0                                    // 0000000022D4: 85158081
	s_cbranch_scc0 label_01B8                                  // 0000000022D8: BF840001
	s_add_u32 s49, s21, s49                                    // 0000000022DC: 80313115

00000000000022e0 <label_01B8>:
	s_set_gpr_idx_on s49, gpr_idx(DST)                         // 0000000022E0: BF110831
	v_writelane_b32 v17, 0, s22                                // 0000000022E4: D28A0011 00002C80
	s_set_gpr_idx_off                                          // 0000000022EC: BF9C0000
	s_mul_i32 s49, 64, s49                                     // 0000000022F0: 923131C0
	s_add_u32 s49, s22, s49                                    // 0000000022F4: 80313116
	v_writelane_b32 v23, s49, 1                                // 0000000022F8: D28A0017 00010231
	s_mov_b32 s22, s38                                         // 000000002300: BE960026
	s_cmp_eq_u32 s38, -1                                       // 000000002304: BF06C126
	s_cselect_b32 s21, 1, 0                                    // 000000002308: 85158081
	s_cbranch_scc0 label_01CA                                  // 00000000230C: BF840006
	s_add_u32 s55, s21, s55                                    // 000000002310: 80373715
	s_mov_b32 s22, s39                                         // 000000002314: BE960027
	s_cmp_eq_u32 s39, -1                                       // 000000002318: BF06C127
	s_cselect_b32 s21, 1, 0                                    // 00000000231C: 85158081
	s_cbranch_scc0 label_01CA                                  // 000000002320: BF840001
	s_add_u32 s55, s21, s55                                    // 000000002324: 80373715

0000000000002328 <label_01CA>:
	s_set_gpr_idx_on s55, gpr_idx(DST)                         // 000000002328: BF110837
	v_writelane_b32 v19, 0, s22                                // 00000000232C: D28A0013 00002C80
	s_set_gpr_idx_off                                          // 000000002334: BF9C0000
	s_mul_i32 s55, 64, s55                                     // 000000002338: 923737C0
	s_add_u32 s55, s22, s55                                    // 00000000233C: 80373716
	v_writelane_b32 v24, s55, 1                                // 000000002340: D28A0018 00010237
	s_mov_b32 s22, s40                                         // 000000002348: BE960028
	s_cmp_eq_u32 s40, -1                                       // 00000000234C: BF06C128
	s_cselect_b32 s21, 1, 0                                    // 000000002350: 85158081
	s_cbranch_scc0 label_01DC                                  // 000000002354: BF840006
	s_add_u32 s61, s21, s61                                    // 000000002358: 803D3D15
	s_mov_b32 s22, s41                                         // 00000000235C: BE960029
	s_cmp_eq_u32 s41, -1                                       // 000000002360: BF06C129
	s_cselect_b32 s21, 1, 0                                    // 000000002364: 85158081
	s_cbranch_scc0 label_01DC                                  // 000000002368: BF840001
	s_add_u32 s61, s21, s61                                    // 00000000236C: 803D3D15

0000000000002370 <label_01DC>:
	s_set_gpr_idx_on s61, gpr_idx(DST)                         // 000000002370: BF11083D
	v_writelane_b32 v21, 0, s22                                // 000000002374: D28A0015 00002C80
	s_set_gpr_idx_off                                          // 00000000237C: BF9C0000
	s_mul_i32 s61, 64, s61                                     // 000000002380: 923D3DC0
	s_add_u32 s61, s22, s61                                    // 000000002384: 803D3D16
	v_writelane_b32 v25, s61, 1                                // 000000002388: D28A0019 0001023D
	v_max_f32_e32 v35, v17, v18                                // 000000002390: 16462511
	v_max_f32_e32 v36, v19, v20                                // 000000002394: 16482913
	v_max_f32_e32 v37, v21, v22                                // 000000002398: 164A2D15
	v_max_f32_dpp v4, v35, v35 quad_perm:[1,0,3,2] row_mask:0xf bank_mask:0xf// 00000000239C: 160846FA FF00B123
	v_max_f32_dpp v5, v36, v36 quad_perm:[1,0,3,2] row_mask:0xf bank_mask:0xf// 0000000023A4: 160A48FA FF00B124
	v_max_f32_dpp v6, v37, v37 quad_perm:[1,0,3,2] row_mask:0xf bank_mask:0xf// 0000000023AC: 160C4AFA FF00B125
	v_max_f32_dpp v4, v4, v4 quad_perm:[2,3,0,1] row_mask:0xf bank_mask:0xf// 0000000023B4: 160808FA FF004E04
	v_max_f32_dpp v5, v5, v5 quad_perm:[2,3,0,1] row_mask:0xf bank_mask:0xf// 0000000023BC: 160A0AFA FF004E05
	v_max_f32_dpp v6, v6, v6 quad_perm:[2,3,0,1] row_mask:0xf bank_mask:0xf// 0000000023C4: 160C0CFA FF004E06
	v_max_f32_dpp v4, v4, v4 row_shr:4 row_mask:0xf bank_mask:0xf// 0000000023CC: 160808FA FF011404
	v_max_f32_dpp v5, v5, v5 row_shr:4 row_mask:0xf bank_mask:0xf// 0000000023D4: 160A0AFA FF011405
	v_max_f32_dpp v6, v6, v6 row_shr:4 row_mask:0xf bank_mask:0xf// 0000000023DC: 160C0CFA FF011406
	v_max_f32_dpp v4, v4, v4 row_shr:8 row_mask:0xf bank_mask:0xf// 0000000023E4: 160808FA FF011804
	v_max_f32_dpp v5, v5, v5 row_shr:8 row_mask:0xf bank_mask:0xf// 0000000023EC: 160A0AFA FF011805
	v_max_f32_dpp v6, v6, v6 row_shr:8 row_mask:0xf bank_mask:0xf// 0000000023F4: 160C0CFA FF011806
	v_max_f32_dpp v4, v4, v4 row_bcast:15 row_mask:0xf bank_mask:0xf// 0000000023FC: 160808FA FF014204
	v_max_f32_dpp v5, v5, v5 row_bcast:15 row_mask:0xf bank_mask:0xf// 000000002404: 160A0AFA FF014205
	v_max_f32_dpp v6, v6, v6 row_bcast:15 row_mask:0xf bank_mask:0xf// 00000000240C: 160C0CFA FF014206
	v_max_f32_dpp v4, v4, v4 row_bcast:31 row_mask:0xf bank_mask:0xf// 000000002414: 160808FA FF014304
	v_max_f32_dpp v5, v5, v5 row_bcast:31 row_mask:0xf bank_mask:0xf// 00000000241C: 160A0AFA FF014305
	v_max_f32_dpp v6, v6, v6 row_bcast:31 row_mask:0xf bank_mask:0xf// 000000002424: 160C0CFA FF014306
	v_readlane_b32 s20, v4, 63                                 // 00000000242C: D2890014 00017F04
	v_mov_b32_e32 v35, s20                                     // 000000002434: 7E460214
	v_readlane_b32 s21, v5, 63                                 // 000000002438: D2890015 00017F05
	v_mov_b32_e32 v36, s21                                     // 000000002440: 7E480215
	v_readlane_b32 s22, v6, 63                                 // 000000002444: D2890016 00017F06
	v_mov_b32_e32 v37, s22                                     // 00000000244C: 7E4A0216
	v_cmp_eq_f32_e64 s[24:25], v35, v17                        // 000000002450: D0420018 00022323
	v_cmp_eq_f32_e64 s[26:27], v35, v18                        // 000000002458: D042001A 00022523
	s_ff1_i32_b64 s36, s[24:25]                                // 000000002460: BEA41118
	s_ff1_i32_b64 s37, s[26:27]                                // 000000002464: BEA5111A
	v_cmp_eq_f32_e64 s[28:29], v36, v19                        // 000000002468: D042001C 00022724
	v_cmp_eq_f32_e64 s[30:31], v36, v20                        // 000000002470: D042001E 00022924
	s_ff1_i32_b64 s38, s[28:29]                                // 000000002478: BEA6111C
	s_ff1_i32_b64 s39, s[30:31]                                // 00000000247C: BEA7111E
	v_cmp_eq_f32_e64 s[32:33], v37, v21                        // 000000002480: D0420020 00022B25
	v_cmp_eq_f32_e64 s[34:35], v37, v22                        // 000000002488: D0420022 00022D25
	s_ff1_i32_b64 s40, s[32:33]                                // 000000002490: BEA81120
	s_ff1_i32_b64 s41, s[34:35]                                // 000000002494: BEA91122
	v_readlane_b32 s20, v35, 0                                 // 000000002498: D2890014 00010123
	v_writelane_b32 v26, s20, 2                                // 0000000024A0: D28A001A 00010414
	v_readlane_b32 s21, v36, 0                                 // 0000000024A8: D2890015 00010124
	v_writelane_b32 v27, s21, 2                                // 0000000024B0: D28A001B 00010415
	v_readlane_b32 s22, v37, 0                                 // 0000000024B8: D2890016 00010125
	v_writelane_b32 v28, s22, 2                                // 0000000024C0: D28A001C 00010416
	s_mov_b32 s22, s36                                         // 0000000024C8: BE960024
	s_cmp_eq_u32 s36, -1                                       // 0000000024CC: BF06C124
	s_cselect_b32 s21, 1, 0                                    // 0000000024D0: 85158081
	s_cbranch_scc0 label_023C                                  // 0000000024D4: BF840006
	s_add_u32 s50, s21, s50                                    // 0000000024D8: 80323215
	s_mov_b32 s22, s37                                         // 0000000024DC: BE960025
	s_cmp_eq_u32 s37, -1                                       // 0000000024E0: BF06C125
	s_cselect_b32 s21, 1, 0                                    // 0000000024E4: 85158081
	s_cbranch_scc0 label_023C                                  // 0000000024E8: BF840001
	s_add_u32 s50, s21, s50                                    // 0000000024EC: 80323215

00000000000024f0 <label_023C>:
	s_set_gpr_idx_on s50, gpr_idx(DST)                         // 0000000024F0: BF110832
	v_writelane_b32 v17, 0, s22                                // 0000000024F4: D28A0011 00002C80
	s_set_gpr_idx_off                                          // 0000000024FC: BF9C0000
	s_mul_i32 s50, 64, s50                                     // 000000002500: 923232C0
	s_add_u32 s50, s22, s50                                    // 000000002504: 80323216
	v_writelane_b32 v23, s50, 2                                // 000000002508: D28A0017 00010432
	s_mov_b32 s22, s38                                         // 000000002510: BE960026
	s_cmp_eq_u32 s38, -1                                       // 000000002514: BF06C126
	s_cselect_b32 s21, 1, 0                                    // 000000002518: 85158081
	s_cbranch_scc0 label_024E                                  // 00000000251C: BF840006
	s_add_u32 s56, s21, s56                                    // 000000002520: 80383815
	s_mov_b32 s22, s39                                         // 000000002524: BE960027
	s_cmp_eq_u32 s39, -1                                       // 000000002528: BF06C127
	s_cselect_b32 s21, 1, 0                                    // 00000000252C: 85158081
	s_cbranch_scc0 label_024E                                  // 000000002530: BF840001
	s_add_u32 s56, s21, s56                                    // 000000002534: 80383815

0000000000002538 <label_024E>:
	s_set_gpr_idx_on s56, gpr_idx(DST)                         // 000000002538: BF110838
	v_writelane_b32 v19, 0, s22                                // 00000000253C: D28A0013 00002C80
	s_set_gpr_idx_off                                          // 000000002544: BF9C0000
	s_mul_i32 s56, 64, s56                                     // 000000002548: 923838C0
	s_add_u32 s56, s22, s56                                    // 00000000254C: 80383816
	v_writelane_b32 v24, s56, 2                                // 000000002550: D28A0018 00010438
	s_mov_b32 s22, s40                                         // 000000002558: BE960028
	s_cmp_eq_u32 s40, -1                                       // 00000000255C: BF06C128
	s_cselect_b32 s21, 1, 0                                    // 000000002560: 85158081
	s_cbranch_scc0 label_0260                                  // 000000002564: BF840006
	s_add_u32 s62, s21, s62                                    // 000000002568: 803E3E15
	s_mov_b32 s22, s41                                         // 00000000256C: BE960029
	s_cmp_eq_u32 s41, -1                                       // 000000002570: BF06C129
	s_cselect_b32 s21, 1, 0                                    // 000000002574: 85158081
	s_cbranch_scc0 label_0260                                  // 000000002578: BF840001
	s_add_u32 s62, s21, s62                                    // 00000000257C: 803E3E15

0000000000002580 <label_0260>:
	s_set_gpr_idx_on s62, gpr_idx(DST)                         // 000000002580: BF11083E
	v_writelane_b32 v21, 0, s22                                // 000000002584: D28A0015 00002C80
	s_set_gpr_idx_off                                          // 00000000258C: BF9C0000
	s_mul_i32 s62, 64, s62                                     // 000000002590: 923E3EC0
	s_add_u32 s62, s22, s62                                    // 000000002594: 803E3E16
	v_writelane_b32 v25, s62, 2                                // 000000002598: D28A0019 0001043E
	v_max_f32_e32 v35, v17, v18                                // 0000000025A0: 16462511
	v_max_f32_e32 v36, v19, v20                                // 0000000025A4: 16482913
	v_max_f32_e32 v37, v21, v22                                // 0000000025A8: 164A2D15
	v_max_f32_dpp v4, v35, v35 quad_perm:[1,0,3,2] row_mask:0xf bank_mask:0xf// 0000000025AC: 160846FA FF00B123
	v_max_f32_dpp v5, v36, v36 quad_perm:[1,0,3,2] row_mask:0xf bank_mask:0xf// 0000000025B4: 160A48FA FF00B124
	v_max_f32_dpp v6, v37, v37 quad_perm:[1,0,3,2] row_mask:0xf bank_mask:0xf// 0000000025BC: 160C4AFA FF00B125
	v_max_f32_dpp v4, v4, v4 quad_perm:[2,3,0,1] row_mask:0xf bank_mask:0xf// 0000000025C4: 160808FA FF004E04
	v_max_f32_dpp v5, v5, v5 quad_perm:[2,3,0,1] row_mask:0xf bank_mask:0xf// 0000000025CC: 160A0AFA FF004E05
	v_max_f32_dpp v6, v6, v6 quad_perm:[2,3,0,1] row_mask:0xf bank_mask:0xf// 0000000025D4: 160C0CFA FF004E06
	v_max_f32_dpp v4, v4, v4 row_shr:4 row_mask:0xf bank_mask:0xf// 0000000025DC: 160808FA FF011404
	v_max_f32_dpp v5, v5, v5 row_shr:4 row_mask:0xf bank_mask:0xf// 0000000025E4: 160A0AFA FF011405
	v_max_f32_dpp v6, v6, v6 row_shr:4 row_mask:0xf bank_mask:0xf// 0000000025EC: 160C0CFA FF011406
	v_max_f32_dpp v4, v4, v4 row_shr:8 row_mask:0xf bank_mask:0xf// 0000000025F4: 160808FA FF011804
	v_max_f32_dpp v5, v5, v5 row_shr:8 row_mask:0xf bank_mask:0xf// 0000000025FC: 160A0AFA FF011805
	v_max_f32_dpp v6, v6, v6 row_shr:8 row_mask:0xf bank_mask:0xf// 000000002604: 160C0CFA FF011806
	v_max_f32_dpp v4, v4, v4 row_bcast:15 row_mask:0xf bank_mask:0xf// 00000000260C: 160808FA FF014204
	v_max_f32_dpp v5, v5, v5 row_bcast:15 row_mask:0xf bank_mask:0xf// 000000002614: 160A0AFA FF014205
	v_max_f32_dpp v6, v6, v6 row_bcast:15 row_mask:0xf bank_mask:0xf// 00000000261C: 160C0CFA FF014206
	v_max_f32_dpp v4, v4, v4 row_bcast:31 row_mask:0xf bank_mask:0xf// 000000002624: 160808FA FF014304
	v_max_f32_dpp v5, v5, v5 row_bcast:31 row_mask:0xf bank_mask:0xf// 00000000262C: 160A0AFA FF014305
	v_max_f32_dpp v6, v6, v6 row_bcast:31 row_mask:0xf bank_mask:0xf// 000000002634: 160C0CFA FF014306
	v_readlane_b32 s20, v4, 63                                 // 00000000263C: D2890014 00017F04
	v_mov_b32_e32 v35, s20                                     // 000000002644: 7E460214
	v_readlane_b32 s21, v5, 63                                 // 000000002648: D2890015 00017F05
	v_mov_b32_e32 v36, s21                                     // 000000002650: 7E480215
	v_readlane_b32 s22, v6, 63                                 // 000000002654: D2890016 00017F06
	v_mov_b32_e32 v37, s22                                     // 00000000265C: 7E4A0216
	v_cmp_eq_f32_e64 s[24:25], v35, v17                        // 000000002660: D0420018 00022323
	v_cmp_eq_f32_e64 s[26:27], v35, v18                        // 000000002668: D042001A 00022523
	s_ff1_i32_b64 s36, s[24:25]                                // 000000002670: BEA41118
	s_ff1_i32_b64 s37, s[26:27]                                // 000000002674: BEA5111A
	v_cmp_eq_f32_e64 s[28:29], v36, v19                        // 000000002678: D042001C 00022724
	v_cmp_eq_f32_e64 s[30:31], v36, v20                        // 000000002680: D042001E 00022924
	s_ff1_i32_b64 s38, s[28:29]                                // 000000002688: BEA6111C
	s_ff1_i32_b64 s39, s[30:31]                                // 00000000268C: BEA7111E
	v_cmp_eq_f32_e64 s[32:33], v37, v21                        // 000000002690: D0420020 00022B25
	v_cmp_eq_f32_e64 s[34:35], v37, v22                        // 000000002698: D0420022 00022D25
	s_ff1_i32_b64 s40, s[32:33]                                // 0000000026A0: BEA81120
	s_ff1_i32_b64 s41, s[34:35]                                // 0000000026A4: BEA91122
	v_readlane_b32 s20, v35, 0                                 // 0000000026A8: D2890014 00010123
	v_writelane_b32 v26, s20, 3                                // 0000000026B0: D28A001A 00010614
	v_readlane_b32 s21, v36, 0                                 // 0000000026B8: D2890015 00010124
	v_writelane_b32 v27, s21, 3                                // 0000000026C0: D28A001B 00010615
	v_readlane_b32 s22, v37, 0                                 // 0000000026C8: D2890016 00010125
	v_writelane_b32 v28, s22, 3                                // 0000000026D0: D28A001C 00010616
	s_mov_b32 s22, s36                                         // 0000000026D8: BE960024
	s_cmp_eq_u32 s36, -1                                       // 0000000026DC: BF06C124
	s_cselect_b32 s21, 1, 0                                    // 0000000026E0: 85158081
	s_cbranch_scc0 label_02C0                                  // 0000000026E4: BF840006
	s_add_u32 s51, s21, s51                                    // 0000000026E8: 80333315
	s_mov_b32 s22, s37                                         // 0000000026EC: BE960025
	s_cmp_eq_u32 s37, -1                                       // 0000000026F0: BF06C125
	s_cselect_b32 s21, 1, 0                                    // 0000000026F4: 85158081
	s_cbranch_scc0 label_02C0                                  // 0000000026F8: BF840001
	s_add_u32 s51, s21, s51                                    // 0000000026FC: 80333315

0000000000002700 <label_02C0>:
	s_set_gpr_idx_on s51, gpr_idx(DST)                         // 000000002700: BF110833
	v_writelane_b32 v17, 0, s22                                // 000000002704: D28A0011 00002C80
	s_set_gpr_idx_off                                          // 00000000270C: BF9C0000
	s_mul_i32 s51, 64, s51                                     // 000000002710: 923333C0
	s_add_u32 s51, s22, s51                                    // 000000002714: 80333316
	v_writelane_b32 v23, s51, 3                                // 000000002718: D28A0017 00010633
	s_mov_b32 s22, s38                                         // 000000002720: BE960026
	s_cmp_eq_u32 s38, -1                                       // 000000002724: BF06C126
	s_cselect_b32 s21, 1, 0                                    // 000000002728: 85158081
	s_cbranch_scc0 label_02D2                                  // 00000000272C: BF840006
	s_add_u32 s57, s21, s57                                    // 000000002730: 80393915
	s_mov_b32 s22, s39                                         // 000000002734: BE960027
	s_cmp_eq_u32 s39, -1                                       // 000000002738: BF06C127
	s_cselect_b32 s21, 1, 0                                    // 00000000273C: 85158081
	s_cbranch_scc0 label_02D2                                  // 000000002740: BF840001
	s_add_u32 s57, s21, s57                                    // 000000002744: 80393915

0000000000002748 <label_02D2>:
	s_set_gpr_idx_on s57, gpr_idx(DST)                         // 000000002748: BF110839
	v_writelane_b32 v19, 0, s22                                // 00000000274C: D28A0013 00002C80
	s_set_gpr_idx_off                                          // 000000002754: BF9C0000
	s_mul_i32 s57, 64, s57                                     // 000000002758: 923939C0
	s_add_u32 s57, s22, s57                                    // 00000000275C: 80393916
	v_writelane_b32 v24, s57, 3                                // 000000002760: D28A0018 00010639
	s_mov_b32 s22, s40                                         // 000000002768: BE960028
	s_cmp_eq_u32 s40, -1                                       // 00000000276C: BF06C128
	s_cselect_b32 s21, 1, 0                                    // 000000002770: 85158081
	s_cbranch_scc0 label_02E4                                  // 000000002774: BF840006
	s_add_u32 s63, s21, s63                                    // 000000002778: 803F3F15
	s_mov_b32 s22, s41                                         // 00000000277C: BE960029
	s_cmp_eq_u32 s41, -1                                       // 000000002780: BF06C129
	s_cselect_b32 s21, 1, 0                                    // 000000002784: 85158081
	s_cbranch_scc0 label_02E4                                  // 000000002788: BF840001
	s_add_u32 s63, s21, s63                                    // 00000000278C: 803F3F15

0000000000002790 <label_02E4>:
	s_set_gpr_idx_on s63, gpr_idx(DST)                         // 000000002790: BF11083F
	v_writelane_b32 v21, 0, s22                                // 000000002794: D28A0015 00002C80
	s_set_gpr_idx_off                                          // 00000000279C: BF9C0000
	s_mul_i32 s63, 64, s63                                     // 0000000027A0: 923F3FC0
	s_add_u32 s63, s22, s63                                    // 0000000027A4: 803F3F16
	v_writelane_b32 v25, s63, 3                                // 0000000027A8: D28A0019 0001063F
	v_max_f32_e32 v35, v17, v18                                // 0000000027B0: 16462511
	v_max_f32_e32 v36, v19, v20                                // 0000000027B4: 16482913
	v_max_f32_e32 v37, v21, v22                                // 0000000027B8: 164A2D15
	v_max_f32_dpp v4, v35, v35 quad_perm:[1,0,3,2] row_mask:0xf bank_mask:0xf// 0000000027BC: 160846FA FF00B123
	v_max_f32_dpp v5, v36, v36 quad_perm:[1,0,3,2] row_mask:0xf bank_mask:0xf// 0000000027C4: 160A48FA FF00B124
	v_max_f32_dpp v6, v37, v37 quad_perm:[1,0,3,2] row_mask:0xf bank_mask:0xf// 0000000027CC: 160C4AFA FF00B125
	v_max_f32_dpp v4, v4, v4 quad_perm:[2,3,0,1] row_mask:0xf bank_mask:0xf// 0000000027D4: 160808FA FF004E04
	v_max_f32_dpp v5, v5, v5 quad_perm:[2,3,0,1] row_mask:0xf bank_mask:0xf// 0000000027DC: 160A0AFA FF004E05
	v_max_f32_dpp v6, v6, v6 quad_perm:[2,3,0,1] row_mask:0xf bank_mask:0xf// 0000000027E4: 160C0CFA FF004E06
	v_max_f32_dpp v4, v4, v4 row_shr:4 row_mask:0xf bank_mask:0xf// 0000000027EC: 160808FA FF011404
	v_max_f32_dpp v5, v5, v5 row_shr:4 row_mask:0xf bank_mask:0xf// 0000000027F4: 160A0AFA FF011405
	v_max_f32_dpp v6, v6, v6 row_shr:4 row_mask:0xf bank_mask:0xf// 0000000027FC: 160C0CFA FF011406
	v_max_f32_dpp v4, v4, v4 row_shr:8 row_mask:0xf bank_mask:0xf// 000000002804: 160808FA FF011804
	v_max_f32_dpp v5, v5, v5 row_shr:8 row_mask:0xf bank_mask:0xf// 00000000280C: 160A0AFA FF011805
	v_max_f32_dpp v6, v6, v6 row_shr:8 row_mask:0xf bank_mask:0xf// 000000002814: 160C0CFA FF011806
	v_max_f32_dpp v4, v4, v4 row_bcast:15 row_mask:0xf bank_mask:0xf// 00000000281C: 160808FA FF014204
	v_max_f32_dpp v5, v5, v5 row_bcast:15 row_mask:0xf bank_mask:0xf// 000000002824: 160A0AFA FF014205
	v_max_f32_dpp v6, v6, v6 row_bcast:15 row_mask:0xf bank_mask:0xf// 00000000282C: 160C0CFA FF014206
	v_max_f32_dpp v4, v4, v4 row_bcast:31 row_mask:0xf bank_mask:0xf// 000000002834: 160808FA FF014304
	v_max_f32_dpp v5, v5, v5 row_bcast:31 row_mask:0xf bank_mask:0xf// 00000000283C: 160A0AFA FF014305
	v_max_f32_dpp v6, v6, v6 row_bcast:31 row_mask:0xf bank_mask:0xf// 000000002844: 160C0CFA FF014306
	v_readlane_b32 s20, v4, 63                                 // 00000000284C: D2890014 00017F04
	v_mov_b32_e32 v35, s20                                     // 000000002854: 7E460214
	v_readlane_b32 s21, v5, 63                                 // 000000002858: D2890015 00017F05
	v_mov_b32_e32 v36, s21                                     // 000000002860: 7E480215
	v_readlane_b32 s22, v6, 63                                 // 000000002864: D2890016 00017F06
	v_mov_b32_e32 v37, s22                                     // 00000000286C: 7E4A0216
	v_cmp_eq_f32_e64 s[24:25], v35, v17                        // 000000002870: D0420018 00022323
	v_cmp_eq_f32_e64 s[26:27], v35, v18                        // 000000002878: D042001A 00022523
	s_ff1_i32_b64 s36, s[24:25]                                // 000000002880: BEA41118
	s_ff1_i32_b64 s37, s[26:27]                                // 000000002884: BEA5111A
	v_cmp_eq_f32_e64 s[28:29], v36, v19                        // 000000002888: D042001C 00022724
	v_cmp_eq_f32_e64 s[30:31], v36, v20                        // 000000002890: D042001E 00022924
	s_ff1_i32_b64 s38, s[28:29]                                // 000000002898: BEA6111C
	s_ff1_i32_b64 s39, s[30:31]                                // 00000000289C: BEA7111E
	v_cmp_eq_f32_e64 s[32:33], v37, v21                        // 0000000028A0: D0420020 00022B25
	v_cmp_eq_f32_e64 s[34:35], v37, v22                        // 0000000028A8: D0420022 00022D25
	s_ff1_i32_b64 s40, s[32:33]                                // 0000000028B0: BEA81120
	s_ff1_i32_b64 s41, s[34:35]                                // 0000000028B4: BEA91122
	v_readlane_b32 s20, v35, 0                                 // 0000000028B8: D2890014 00010123
	v_writelane_b32 v26, s20, 4                                // 0000000028C0: D28A001A 00010814
	v_readlane_b32 s21, v36, 0                                 // 0000000028C8: D2890015 00010124
	v_writelane_b32 v27, s21, 4                                // 0000000028D0: D28A001B 00010815
	v_readlane_b32 s22, v37, 0                                 // 0000000028D8: D2890016 00010125
	v_writelane_b32 v28, s22, 4                                // 0000000028E0: D28A001C 00010816
	s_mov_b32 s22, s36                                         // 0000000028E8: BE960024
	s_cmp_eq_u32 s36, -1                                       // 0000000028EC: BF06C124
	s_cselect_b32 s21, 1, 0                                    // 0000000028F0: 85158081
	s_cbranch_scc0 label_0344                                  // 0000000028F4: BF840006
	s_add_u32 s52, s21, s52                                    // 0000000028F8: 80343415
	s_mov_b32 s22, s37                                         // 0000000028FC: BE960025
	s_cmp_eq_u32 s37, -1                                       // 000000002900: BF06C125
	s_cselect_b32 s21, 1, 0                                    // 000000002904: 85158081
	s_cbranch_scc0 label_0344                                  // 000000002908: BF840001
	s_add_u32 s52, s21, s52                                    // 00000000290C: 80343415

0000000000002910 <label_0344>:
	s_set_gpr_idx_on s52, gpr_idx(DST)                         // 000000002910: BF110834
	v_writelane_b32 v17, 0, s22                                // 000000002914: D28A0011 00002C80
	s_set_gpr_idx_off                                          // 00000000291C: BF9C0000
	s_mul_i32 s52, 64, s52                                     // 000000002920: 923434C0
	s_add_u32 s52, s22, s52                                    // 000000002924: 80343416
	v_writelane_b32 v23, s52, 4                                // 000000002928: D28A0017 00010834
	s_mov_b32 s22, s38                                         // 000000002930: BE960026
	s_cmp_eq_u32 s38, -1                                       // 000000002934: BF06C126
	s_cselect_b32 s21, 1, 0                                    // 000000002938: 85158081
	s_cbranch_scc0 label_0356                                  // 00000000293C: BF840006
	s_add_u32 s58, s21, s58                                    // 000000002940: 803A3A15
	s_mov_b32 s22, s39                                         // 000000002944: BE960027
	s_cmp_eq_u32 s39, -1                                       // 000000002948: BF06C127
	s_cselect_b32 s21, 1, 0                                    // 00000000294C: 85158081
	s_cbranch_scc0 label_0356                                  // 000000002950: BF840001
	s_add_u32 s58, s21, s58                                    // 000000002954: 803A3A15

0000000000002958 <label_0356>:
	s_set_gpr_idx_on s58, gpr_idx(DST)                         // 000000002958: BF11083A
	v_writelane_b32 v19, 0, s22                                // 00000000295C: D28A0013 00002C80
	s_set_gpr_idx_off                                          // 000000002964: BF9C0000
	s_mul_i32 s58, 64, s58                                     // 000000002968: 923A3AC0
	s_add_u32 s58, s22, s58                                    // 00000000296C: 803A3A16
	v_writelane_b32 v24, s58, 4                                // 000000002970: D28A0018 0001083A
	s_mov_b32 s22, s40                                         // 000000002978: BE960028
	s_cmp_eq_u32 s40, -1                                       // 00000000297C: BF06C128
	s_cselect_b32 s21, 1, 0                                    // 000000002980: 85158081
	s_cbranch_scc0 label_0368                                  // 000000002984: BF840006
	s_add_u32 s64, s21, s64                                    // 000000002988: 80404015
	s_mov_b32 s22, s41                                         // 00000000298C: BE960029
	s_cmp_eq_u32 s41, -1                                       // 000000002990: BF06C129
	s_cselect_b32 s21, 1, 0                                    // 000000002994: 85158081
	s_cbranch_scc0 label_0368                                  // 000000002998: BF840001
	s_add_u32 s64, s21, s64                                    // 00000000299C: 80404015

00000000000029a0 <label_0368>:
	s_set_gpr_idx_on s64, gpr_idx(DST)                         // 0000000029A0: BF110840
	v_writelane_b32 v21, 0, s22                                // 0000000029A4: D28A0015 00002C80
	s_set_gpr_idx_off                                          // 0000000029AC: BF9C0000
	s_mul_i32 s64, 64, s64                                     // 0000000029B0: 924040C0
	s_add_u32 s64, s22, s64                                    // 0000000029B4: 80404016
	v_writelane_b32 v25, s64, 4                                // 0000000029B8: D28A0019 00010840
	v_max_f32_e32 v35, v17, v18                                // 0000000029C0: 16462511
	v_max_f32_e32 v36, v19, v20                                // 0000000029C4: 16482913
	v_max_f32_e32 v37, v21, v22                                // 0000000029C8: 164A2D15
	v_max_f32_dpp v4, v35, v35 quad_perm:[1,0,3,2] row_mask:0xf bank_mask:0xf// 0000000029CC: 160846FA FF00B123
	v_max_f32_dpp v5, v36, v36 quad_perm:[1,0,3,2] row_mask:0xf bank_mask:0xf// 0000000029D4: 160A48FA FF00B124
	v_max_f32_dpp v6, v37, v37 quad_perm:[1,0,3,2] row_mask:0xf bank_mask:0xf// 0000000029DC: 160C4AFA FF00B125
	v_max_f32_dpp v4, v4, v4 quad_perm:[2,3,0,1] row_mask:0xf bank_mask:0xf// 0000000029E4: 160808FA FF004E04
	v_max_f32_dpp v5, v5, v5 quad_perm:[2,3,0,1] row_mask:0xf bank_mask:0xf// 0000000029EC: 160A0AFA FF004E05
	v_max_f32_dpp v6, v6, v6 quad_perm:[2,3,0,1] row_mask:0xf bank_mask:0xf// 0000000029F4: 160C0CFA FF004E06
	v_max_f32_dpp v4, v4, v4 row_shr:4 row_mask:0xf bank_mask:0xf// 0000000029FC: 160808FA FF011404
	v_max_f32_dpp v5, v5, v5 row_shr:4 row_mask:0xf bank_mask:0xf// 000000002A04: 160A0AFA FF011405
	v_max_f32_dpp v6, v6, v6 row_shr:4 row_mask:0xf bank_mask:0xf// 000000002A0C: 160C0CFA FF011406
	v_max_f32_dpp v4, v4, v4 row_shr:8 row_mask:0xf bank_mask:0xf// 000000002A14: 160808FA FF011804
	v_max_f32_dpp v5, v5, v5 row_shr:8 row_mask:0xf bank_mask:0xf// 000000002A1C: 160A0AFA FF011805
	v_max_f32_dpp v6, v6, v6 row_shr:8 row_mask:0xf bank_mask:0xf// 000000002A24: 160C0CFA FF011806
	v_max_f32_dpp v4, v4, v4 row_bcast:15 row_mask:0xf bank_mask:0xf// 000000002A2C: 160808FA FF014204
	v_max_f32_dpp v5, v5, v5 row_bcast:15 row_mask:0xf bank_mask:0xf// 000000002A34: 160A0AFA FF014205
	v_max_f32_dpp v6, v6, v6 row_bcast:15 row_mask:0xf bank_mask:0xf// 000000002A3C: 160C0CFA FF014206
	v_max_f32_dpp v4, v4, v4 row_bcast:31 row_mask:0xf bank_mask:0xf// 000000002A44: 160808FA FF014304
	v_max_f32_dpp v5, v5, v5 row_bcast:31 row_mask:0xf bank_mask:0xf// 000000002A4C: 160A0AFA FF014305
	v_max_f32_dpp v6, v6, v6 row_bcast:31 row_mask:0xf bank_mask:0xf// 000000002A54: 160C0CFA FF014306
	v_readlane_b32 s20, v4, 63                                 // 000000002A5C: D2890014 00017F04
	v_mov_b32_e32 v35, s20                                     // 000000002A64: 7E460214
	v_readlane_b32 s21, v5, 63                                 // 000000002A68: D2890015 00017F05
	v_mov_b32_e32 v36, s21                                     // 000000002A70: 7E480215
	v_readlane_b32 s22, v6, 63                                 // 000000002A74: D2890016 00017F06
	v_mov_b32_e32 v37, s22                                     // 000000002A7C: 7E4A0216
	v_cmp_eq_f32_e64 s[24:25], v35, v17                        // 000000002A80: D0420018 00022323
	v_cmp_eq_f32_e64 s[26:27], v35, v18                        // 000000002A88: D042001A 00022523
	s_ff1_i32_b64 s36, s[24:25]                                // 000000002A90: BEA41118
	s_ff1_i32_b64 s37, s[26:27]                                // 000000002A94: BEA5111A
	v_cmp_eq_f32_e64 s[28:29], v36, v19                        // 000000002A98: D042001C 00022724
	v_cmp_eq_f32_e64 s[30:31], v36, v20                        // 000000002AA0: D042001E 00022924
	s_ff1_i32_b64 s38, s[28:29]                                // 000000002AA8: BEA6111C
	s_ff1_i32_b64 s39, s[30:31]                                // 000000002AAC: BEA7111E
	v_cmp_eq_f32_e64 s[32:33], v37, v21                        // 000000002AB0: D0420020 00022B25
	v_cmp_eq_f32_e64 s[34:35], v37, v22                        // 000000002AB8: D0420022 00022D25
	s_ff1_i32_b64 s40, s[32:33]                                // 000000002AC0: BEA81120
	s_ff1_i32_b64 s41, s[34:35]                                // 000000002AC4: BEA91122
	v_readlane_b32 s20, v35, 0                                 // 000000002AC8: D2890014 00010123
	v_writelane_b32 v26, s20, 5                                // 000000002AD0: D28A001A 00010A14
	v_readlane_b32 s21, v36, 0                                 // 000000002AD8: D2890015 00010124
	v_writelane_b32 v27, s21, 5                                // 000000002AE0: D28A001B 00010A15
	v_readlane_b32 s22, v37, 0                                 // 000000002AE8: D2890016 00010125
	v_writelane_b32 v28, s22, 5                                // 000000002AF0: D28A001C 00010A16
	s_mov_b32 s22, s36                                         // 000000002AF8: BE960024
	s_cmp_eq_u32 s36, -1                                       // 000000002AFC: BF06C124
	s_cselect_b32 s21, 1, 0                                    // 000000002B00: 85158081
	s_cbranch_scc0 label_03C8                                  // 000000002B04: BF840006
	s_add_u32 s53, s21, s53                                    // 000000002B08: 80353515
	s_mov_b32 s22, s37                                         // 000000002B0C: BE960025
	s_cmp_eq_u32 s37, -1                                       // 000000002B10: BF06C125
	s_cselect_b32 s21, 1, 0                                    // 000000002B14: 85158081
	s_cbranch_scc0 label_03C8                                  // 000000002B18: BF840001
	s_add_u32 s53, s21, s53                                    // 000000002B1C: 80353515

0000000000002b20 <label_03C8>:
	s_set_gpr_idx_on s53, gpr_idx(DST)                         // 000000002B20: BF110835
	v_writelane_b32 v17, 0, s22                                // 000000002B24: D28A0011 00002C80
	s_set_gpr_idx_off                                          // 000000002B2C: BF9C0000
	s_mul_i32 s53, 64, s53                                     // 000000002B30: 923535C0
	s_add_u32 s53, s22, s53                                    // 000000002B34: 80353516
	v_writelane_b32 v23, s53, 5                                // 000000002B38: D28A0017 00010A35
	s_mov_b32 s22, s38                                         // 000000002B40: BE960026
	s_cmp_eq_u32 s38, -1                                       // 000000002B44: BF06C126
	s_cselect_b32 s21, 1, 0                                    // 000000002B48: 85158081
	s_cbranch_scc0 label_03DA                                  // 000000002B4C: BF840006
	s_add_u32 s59, s21, s59                                    // 000000002B50: 803B3B15
	s_mov_b32 s22, s39                                         // 000000002B54: BE960027
	s_cmp_eq_u32 s39, -1                                       // 000000002B58: BF06C127
	s_cselect_b32 s21, 1, 0                                    // 000000002B5C: 85158081
	s_cbranch_scc0 label_03DA                                  // 000000002B60: BF840001
	s_add_u32 s59, s21, s59                                    // 000000002B64: 803B3B15

0000000000002b68 <label_03DA>:
	s_set_gpr_idx_on s59, gpr_idx(DST)                         // 000000002B68: BF11083B
	v_writelane_b32 v19, 0, s22                                // 000000002B6C: D28A0013 00002C80
	s_set_gpr_idx_off                                          // 000000002B74: BF9C0000
	s_mul_i32 s59, 64, s59                                     // 000000002B78: 923B3BC0
	s_add_u32 s59, s22, s59                                    // 000000002B7C: 803B3B16
	v_writelane_b32 v24, s59, 5                                // 000000002B80: D28A0018 00010A3B
	s_mov_b32 s22, s40                                         // 000000002B88: BE960028
	s_cmp_eq_u32 s40, -1                                       // 000000002B8C: BF06C128
	s_cselect_b32 s21, 1, 0                                    // 000000002B90: 85158081
	s_cbranch_scc0 label_03EC                                  // 000000002B94: BF840006
	s_add_u32 s65, s21, s65                                    // 000000002B98: 80414115
	s_mov_b32 s22, s41                                         // 000000002B9C: BE960029
	s_cmp_eq_u32 s41, -1                                       // 000000002BA0: BF06C129
	s_cselect_b32 s21, 1, 0                                    // 000000002BA4: 85158081
	s_cbranch_scc0 label_03EC                                  // 000000002BA8: BF840001
	s_add_u32 s65, s21, s65                                    // 000000002BAC: 80414115

0000000000002bb0 <label_03EC>:
	s_set_gpr_idx_on s65, gpr_idx(DST)                         // 000000002BB0: BF110841
	v_writelane_b32 v21, 0, s22                                // 000000002BB4: D28A0015 00002C80
	s_set_gpr_idx_off                                          // 000000002BBC: BF9C0000
	s_mul_i32 s65, 64, s65                                     // 000000002BC0: 924141C0
	s_add_u32 s65, s22, s65                                    // 000000002BC4: 80414116
	v_writelane_b32 v25, s65, 5                                // 000000002BC8: D28A0019 00010A41
	s_bfm_b64 exec, s18, 0                                     // 000000002BD0: 91FE8012
	buffer_store_dword v23, v11, s[4:7], 0 offen               // 000000002BD4: E0701000 8001170B
	buffer_store_dword v24, v12, s[4:7], 0 offen               // 000000002BDC: E0701000 8001180C
	buffer_store_dword v25, v13, s[4:7], 0 offen               // 000000002BE4: E0701000 8001190D
	buffer_store_dword v26, v14, s[8:11], 0 offen              // 000000002BEC: E0701000 80021A0E
	buffer_store_dword v27, v15, s[8:11], 0 offen              // 000000002BF4: E0701000 80021B0F
	buffer_store_dword v28, v16, s[8:11], 0 offen              // 000000002BFC: E0701000 80021C10
	s_branch label_073F                                        // 000000002C04: BF82033D

0000000000002c08 <label_0402>:
	v_max_f32_e32 v35, v17, v18                                // 000000002C08: 16462511
	v_max_f32_e32 v36, v19, v20                                // 000000002C0C: 16482913
	v_max_f32_e32 v37, v21, v22                                // 000000002C10: 164A2D15
	v_max_f32_dpp v4, v35, v35 quad_perm:[1,0,3,2] row_mask:0xf bank_mask:0xf// 000000002C14: 160846FA FF00B123
	v_max_f32_dpp v5, v36, v36 quad_perm:[1,0,3,2] row_mask:0xf bank_mask:0xf// 000000002C1C: 160A48FA FF00B124
	v_max_f32_dpp v6, v37, v37 quad_perm:[1,0,3,2] row_mask:0xf bank_mask:0xf// 000000002C24: 160C4AFA FF00B125
	v_max_f32_dpp v4, v4, v4 quad_perm:[2,3,0,1] row_mask:0xf bank_mask:0xf// 000000002C2C: 160808FA FF004E04
	v_max_f32_dpp v5, v5, v5 quad_perm:[2,3,0,1] row_mask:0xf bank_mask:0xf// 000000002C34: 160A0AFA FF004E05
	v_max_f32_dpp v6, v6, v6 quad_perm:[2,3,0,1] row_mask:0xf bank_mask:0xf// 000000002C3C: 160C0CFA FF004E06
	v_max_f32_dpp v4, v4, v4 row_shr:4 row_mask:0xf bank_mask:0xf// 000000002C44: 160808FA FF011404
	v_max_f32_dpp v5, v5, v5 row_shr:4 row_mask:0xf bank_mask:0xf// 000000002C4C: 160A0AFA FF011405
	v_max_f32_dpp v6, v6, v6 row_shr:4 row_mask:0xf bank_mask:0xf// 000000002C54: 160C0CFA FF011406
	v_max_f32_dpp v4, v4, v4 row_shr:8 row_mask:0xf bank_mask:0xf// 000000002C5C: 160808FA FF011804
	v_max_f32_dpp v5, v5, v5 row_shr:8 row_mask:0xf bank_mask:0xf// 000000002C64: 160A0AFA FF011805
	v_max_f32_dpp v6, v6, v6 row_shr:8 row_mask:0xf bank_mask:0xf// 000000002C6C: 160C0CFA FF011806
	v_max_f32_dpp v4, v4, v4 row_bcast:15 row_mask:0xf bank_mask:0xf// 000000002C74: 160808FA FF014204
	v_max_f32_dpp v5, v5, v5 row_bcast:15 row_mask:0xf bank_mask:0xf// 000000002C7C: 160A0AFA FF014205
	v_max_f32_dpp v6, v6, v6 row_bcast:15 row_mask:0xf bank_mask:0xf// 000000002C84: 160C0CFA FF014206
	v_max_f32_dpp v4, v4, v4 row_bcast:31 row_mask:0xf bank_mask:0xf// 000000002C8C: 160808FA FF014304
	v_max_f32_dpp v5, v5, v5 row_bcast:31 row_mask:0xf bank_mask:0xf// 000000002C94: 160A0AFA FF014305
	v_max_f32_dpp v6, v6, v6 row_bcast:31 row_mask:0xf bank_mask:0xf// 000000002C9C: 160C0CFA FF014306
	v_readlane_b32 s20, v4, 63                                 // 000000002CA4: D2890014 00017F04
	v_mov_b32_e32 v35, s20                                     // 000000002CAC: 7E460214
	v_readlane_b32 s21, v5, 63                                 // 000000002CB0: D2890015 00017F05
	v_mov_b32_e32 v36, s21                                     // 000000002CB8: 7E480215
	v_readlane_b32 s22, v6, 63                                 // 000000002CBC: D2890016 00017F06
	v_mov_b32_e32 v37, s22                                     // 000000002CC4: 7E4A0216
	v_add_f32_e32 v41, v41, v35                                // 000000002CC8: 02524729
	v_add_f32_e32 v42, v42, v36                                // 000000002CCC: 0254492A
	v_add_f32_e32 v43, v43, v37                                // 000000002CD0: 02564B2B
	v_cmp_eq_f32_e64 s[24:25], v35, v17                        // 000000002CD4: D0420018 00022323
	v_cmp_eq_f32_e64 s[26:27], v35, v18                        // 000000002CDC: D042001A 00022523
	s_ff1_i32_b64 s36, s[24:25]                                // 000000002CE4: BEA41118
	s_ff1_i32_b64 s37, s[26:27]                                // 000000002CE8: BEA5111A
	v_cmp_eq_f32_e64 s[28:29], v36, v19                        // 000000002CEC: D042001C 00022724
	v_cmp_eq_f32_e64 s[30:31], v36, v20                        // 000000002CF4: D042001E 00022924
	s_ff1_i32_b64 s38, s[28:29]                                // 000000002CFC: BEA6111C
	s_ff1_i32_b64 s39, s[30:31]                                // 000000002D00: BEA7111E
	v_cmp_eq_f32_e64 s[32:33], v37, v21                        // 000000002D04: D0420020 00022B25
	v_cmp_eq_f32_e64 s[34:35], v37, v22                        // 000000002D0C: D0420022 00022D25
	s_ff1_i32_b64 s40, s[32:33]                                // 000000002D14: BEA81120
	s_ff1_i32_b64 s41, s[34:35]                                // 000000002D18: BEA91122
	v_readlane_b32 s20, v35, 0                                 // 000000002D1C: D2890014 00010123
	v_writelane_b32 v26, s20, 0                                // 000000002D24: D28A001A 00010014
	v_readlane_b32 s21, v36, 0                                 // 000000002D2C: D2890015 00010124
	v_writelane_b32 v27, s21, 0                                // 000000002D34: D28A001B 00010015
	v_readlane_b32 s22, v37, 0                                 // 000000002D3C: D2890016 00010125
	v_writelane_b32 v28, s22, 0                                // 000000002D44: D28A001C 00010016
	s_mov_b32 s22, s36                                         // 000000002D4C: BE960024
	s_cmp_eq_u32 s36, -1                                       // 000000002D50: BF06C124
	s_cselect_b32 s21, 1, 0                                    // 000000002D54: 85158081
	s_cbranch_scc0 label_045D                                  // 000000002D58: BF840006
	s_add_u32 s48, s21, s48                                    // 000000002D5C: 80303015
	s_mov_b32 s22, s37                                         // 000000002D60: BE960025
	s_cmp_eq_u32 s37, -1                                       // 000000002D64: BF06C125
	s_cselect_b32 s21, 1, 0                                    // 000000002D68: 85158081
	s_cbranch_scc0 label_045D                                  // 000000002D6C: BF840001
	s_add_u32 s48, s21, s48                                    // 000000002D70: 80303015

0000000000002d74 <label_045D>:
	s_set_gpr_idx_on s48, gpr_idx(DST)                         // 000000002D74: BF110830
	v_writelane_b32 v17, 0, s22                                // 000000002D78: D28A0011 00002C80
	s_set_gpr_idx_off                                          // 000000002D80: BF9C0000
	s_mul_i32 s48, 64, s48                                     // 000000002D84: 923030C0
	s_add_u32 s48, s22, s48                                    // 000000002D88: 80303016
	v_writelane_b32 v23, s48, 0                                // 000000002D8C: D28A0017 00010030
	s_mov_b32 s22, s38                                         // 000000002D94: BE960026
	s_cmp_eq_u32 s38, -1                                       // 000000002D98: BF06C126
	s_cselect_b32 s21, 1, 0                                    // 000000002D9C: 85158081
	s_cbranch_scc0 label_046F                                  // 000000002DA0: BF840006
	s_add_u32 s54, s21, s54                                    // 000000002DA4: 80363615
	s_mov_b32 s22, s39                                         // 000000002DA8: BE960027
	s_cmp_eq_u32 s39, -1                                       // 000000002DAC: BF06C127
	s_cselect_b32 s21, 1, 0                                    // 000000002DB0: 85158081
	s_cbranch_scc0 label_046F                                  // 000000002DB4: BF840001
	s_add_u32 s54, s21, s54                                    // 000000002DB8: 80363615

0000000000002dbc <label_046F>:
	s_set_gpr_idx_on s54, gpr_idx(DST)                         // 000000002DBC: BF110836
	v_writelane_b32 v19, 0, s22                                // 000000002DC0: D28A0013 00002C80
	s_set_gpr_idx_off                                          // 000000002DC8: BF9C0000
	s_mul_i32 s54, 64, s54                                     // 000000002DCC: 923636C0
	s_add_u32 s54, s22, s54                                    // 000000002DD0: 80363616
	v_writelane_b32 v24, s54, 0                                // 000000002DD4: D28A0018 00010036
	s_mov_b32 s22, s40                                         // 000000002DDC: BE960028
	s_cmp_eq_u32 s40, -1                                       // 000000002DE0: BF06C128
	s_cselect_b32 s21, 1, 0                                    // 000000002DE4: 85158081
	s_cbranch_scc0 label_0481                                  // 000000002DE8: BF840006
	s_add_u32 s60, s21, s60                                    // 000000002DEC: 803C3C15
	s_mov_b32 s22, s41                                         // 000000002DF0: BE960029
	s_cmp_eq_u32 s41, -1                                       // 000000002DF4: BF06C129
	s_cselect_b32 s21, 1, 0                                    // 000000002DF8: 85158081
	s_cbranch_scc0 label_0481                                  // 000000002DFC: BF840001
	s_add_u32 s60, s21, s60                                    // 000000002E00: 803C3C15

0000000000002e04 <label_0481>:
	s_set_gpr_idx_on s60, gpr_idx(DST)                         // 000000002E04: BF11083C
	v_writelane_b32 v21, 0, s22                                // 000000002E08: D28A0015 00002C80
	s_set_gpr_idx_off                                          // 000000002E10: BF9C0000
	s_mul_i32 s60, 64, s60                                     // 000000002E14: 923C3CC0
	s_add_u32 s60, s22, s60                                    // 000000002E18: 803C3C16
	v_writelane_b32 v25, s60, 0                                // 000000002E1C: D28A0019 0001003C
	v_max_f32_e32 v35, v17, v18                                // 000000002E24: 16462511
	v_max_f32_e32 v36, v19, v20                                // 000000002E28: 16482913
	v_max_f32_e32 v37, v21, v22                                // 000000002E2C: 164A2D15
	v_max_f32_dpp v4, v35, v35 quad_perm:[1,0,3,2] row_mask:0xf bank_mask:0xf// 000000002E30: 160846FA FF00B123
	v_max_f32_dpp v5, v36, v36 quad_perm:[1,0,3,2] row_mask:0xf bank_mask:0xf// 000000002E38: 160A48FA FF00B124
	v_max_f32_dpp v6, v37, v37 quad_perm:[1,0,3,2] row_mask:0xf bank_mask:0xf// 000000002E40: 160C4AFA FF00B125
	v_max_f32_dpp v4, v4, v4 quad_perm:[2,3,0,1] row_mask:0xf bank_mask:0xf// 000000002E48: 160808FA FF004E04
	v_max_f32_dpp v5, v5, v5 quad_perm:[2,3,0,1] row_mask:0xf bank_mask:0xf// 000000002E50: 160A0AFA FF004E05
	v_max_f32_dpp v6, v6, v6 quad_perm:[2,3,0,1] row_mask:0xf bank_mask:0xf// 000000002E58: 160C0CFA FF004E06
	v_max_f32_dpp v4, v4, v4 row_shr:4 row_mask:0xf bank_mask:0xf// 000000002E60: 160808FA FF011404
	v_max_f32_dpp v5, v5, v5 row_shr:4 row_mask:0xf bank_mask:0xf// 000000002E68: 160A0AFA FF011405
	v_max_f32_dpp v6, v6, v6 row_shr:4 row_mask:0xf bank_mask:0xf// 000000002E70: 160C0CFA FF011406
	v_max_f32_dpp v4, v4, v4 row_shr:8 row_mask:0xf bank_mask:0xf// 000000002E78: 160808FA FF011804
	v_max_f32_dpp v5, v5, v5 row_shr:8 row_mask:0xf bank_mask:0xf// 000000002E80: 160A0AFA FF011805
	v_max_f32_dpp v6, v6, v6 row_shr:8 row_mask:0xf bank_mask:0xf// 000000002E88: 160C0CFA FF011806
	v_max_f32_dpp v4, v4, v4 row_bcast:15 row_mask:0xf bank_mask:0xf// 000000002E90: 160808FA FF014204
	v_max_f32_dpp v5, v5, v5 row_bcast:15 row_mask:0xf bank_mask:0xf// 000000002E98: 160A0AFA FF014205
	v_max_f32_dpp v6, v6, v6 row_bcast:15 row_mask:0xf bank_mask:0xf// 000000002EA0: 160C0CFA FF014206
	v_max_f32_dpp v4, v4, v4 row_bcast:31 row_mask:0xf bank_mask:0xf// 000000002EA8: 160808FA FF014304
	v_max_f32_dpp v5, v5, v5 row_bcast:31 row_mask:0xf bank_mask:0xf// 000000002EB0: 160A0AFA FF014305
	v_max_f32_dpp v6, v6, v6 row_bcast:31 row_mask:0xf bank_mask:0xf// 000000002EB8: 160C0CFA FF014306
	v_readlane_b32 s20, v4, 63                                 // 000000002EC0: D2890014 00017F04
	v_mov_b32_e32 v35, s20                                     // 000000002EC8: 7E460214
	v_readlane_b32 s21, v5, 63                                 // 000000002ECC: D2890015 00017F05
	v_mov_b32_e32 v36, s21                                     // 000000002ED4: 7E480215
	v_readlane_b32 s22, v6, 63                                 // 000000002ED8: D2890016 00017F06
	v_mov_b32_e32 v37, s22                                     // 000000002EE0: 7E4A0216
	v_add_f32_e32 v41, v41, v35                                // 000000002EE4: 02524729
	v_add_f32_e32 v42, v42, v36                                // 000000002EE8: 0254492A
	v_add_f32_e32 v43, v43, v37                                // 000000002EEC: 02564B2B
	v_cmp_eq_f32_e64 s[24:25], v35, v17                        // 000000002EF0: D0420018 00022323
	v_cmp_eq_f32_e64 s[26:27], v35, v18                        // 000000002EF8: D042001A 00022523
	s_ff1_i32_b64 s36, s[24:25]                                // 000000002F00: BEA41118
	s_ff1_i32_b64 s37, s[26:27]                                // 000000002F04: BEA5111A
	v_cmp_eq_f32_e64 s[28:29], v36, v19                        // 000000002F08: D042001C 00022724
	v_cmp_eq_f32_e64 s[30:31], v36, v20                        // 000000002F10: D042001E 00022924
	s_ff1_i32_b64 s38, s[28:29]                                // 000000002F18: BEA6111C
	s_ff1_i32_b64 s39, s[30:31]                                // 000000002F1C: BEA7111E
	v_cmp_eq_f32_e64 s[32:33], v37, v21                        // 000000002F20: D0420020 00022B25
	v_cmp_eq_f32_e64 s[34:35], v37, v22                        // 000000002F28: D0420022 00022D25
	s_ff1_i32_b64 s40, s[32:33]                                // 000000002F30: BEA81120
	s_ff1_i32_b64 s41, s[34:35]                                // 000000002F34: BEA91122
	v_readlane_b32 s20, v35, 0                                 // 000000002F38: D2890014 00010123
	v_writelane_b32 v26, s20, 1                                // 000000002F40: D28A001A 00010214
	v_readlane_b32 s21, v36, 0                                 // 000000002F48: D2890015 00010124
	v_writelane_b32 v27, s21, 1                                // 000000002F50: D28A001B 00010215
	v_readlane_b32 s22, v37, 0                                 // 000000002F58: D2890016 00010125
	v_writelane_b32 v28, s22, 1                                // 000000002F60: D28A001C 00010216
	s_mov_b32 s22, s36                                         // 000000002F68: BE960024
	s_cmp_eq_u32 s36, -1                                       // 000000002F6C: BF06C124
	s_cselect_b32 s21, 1, 0                                    // 000000002F70: 85158081
	s_cbranch_scc0 label_04E4                                  // 000000002F74: BF840006
	s_add_u32 s49, s21, s49                                    // 000000002F78: 80313115
	s_mov_b32 s22, s37                                         // 000000002F7C: BE960025
	s_cmp_eq_u32 s37, -1                                       // 000000002F80: BF06C125
	s_cselect_b32 s21, 1, 0                                    // 000000002F84: 85158081
	s_cbranch_scc0 label_04E4                                  // 000000002F88: BF840001
	s_add_u32 s49, s21, s49                                    // 000000002F8C: 80313115

0000000000002f90 <label_04E4>:
	s_set_gpr_idx_on s49, gpr_idx(DST)                         // 000000002F90: BF110831
	v_writelane_b32 v17, 0, s22                                // 000000002F94: D28A0011 00002C80
	s_set_gpr_idx_off                                          // 000000002F9C: BF9C0000
	s_mul_i32 s49, 64, s49                                     // 000000002FA0: 923131C0
	s_add_u32 s49, s22, s49                                    // 000000002FA4: 80313116
	v_writelane_b32 v23, s49, 1                                // 000000002FA8: D28A0017 00010231
	s_mov_b32 s22, s38                                         // 000000002FB0: BE960026
	s_cmp_eq_u32 s38, -1                                       // 000000002FB4: BF06C126
	s_cselect_b32 s21, 1, 0                                    // 000000002FB8: 85158081
	s_cbranch_scc0 label_04F6                                  // 000000002FBC: BF840006
	s_add_u32 s55, s21, s55                                    // 000000002FC0: 80373715
	s_mov_b32 s22, s39                                         // 000000002FC4: BE960027
	s_cmp_eq_u32 s39, -1                                       // 000000002FC8: BF06C127
	s_cselect_b32 s21, 1, 0                                    // 000000002FCC: 85158081
	s_cbranch_scc0 label_04F6                                  // 000000002FD0: BF840001
	s_add_u32 s55, s21, s55                                    // 000000002FD4: 80373715

0000000000002fd8 <label_04F6>:
	s_set_gpr_idx_on s55, gpr_idx(DST)                         // 000000002FD8: BF110837
	v_writelane_b32 v19, 0, s22                                // 000000002FDC: D28A0013 00002C80
	s_set_gpr_idx_off                                          // 000000002FE4: BF9C0000
	s_mul_i32 s55, 64, s55                                     // 000000002FE8: 923737C0
	s_add_u32 s55, s22, s55                                    // 000000002FEC: 80373716
	v_writelane_b32 v24, s55, 1                                // 000000002FF0: D28A0018 00010237
	s_mov_b32 s22, s40                                         // 000000002FF8: BE960028
	s_cmp_eq_u32 s40, -1                                       // 000000002FFC: BF06C128
	s_cselect_b32 s21, 1, 0                                    // 000000003000: 85158081
	s_cbranch_scc0 label_0508                                  // 000000003004: BF840006
	s_add_u32 s61, s21, s61                                    // 000000003008: 803D3D15
	s_mov_b32 s22, s41                                         // 00000000300C: BE960029
	s_cmp_eq_u32 s41, -1                                       // 000000003010: BF06C129
	s_cselect_b32 s21, 1, 0                                    // 000000003014: 85158081
	s_cbranch_scc0 label_0508                                  // 000000003018: BF840001
	s_add_u32 s61, s21, s61                                    // 00000000301C: 803D3D15

0000000000003020 <label_0508>:
	s_set_gpr_idx_on s61, gpr_idx(DST)                         // 000000003020: BF11083D
	v_writelane_b32 v21, 0, s22                                // 000000003024: D28A0015 00002C80
	s_set_gpr_idx_off                                          // 00000000302C: BF9C0000
	s_mul_i32 s61, 64, s61                                     // 000000003030: 923D3DC0
	s_add_u32 s61, s22, s61                                    // 000000003034: 803D3D16
	v_writelane_b32 v25, s61, 1                                // 000000003038: D28A0019 0001023D
	v_max_f32_e32 v35, v17, v18                                // 000000003040: 16462511
	v_max_f32_e32 v36, v19, v20                                // 000000003044: 16482913
	v_max_f32_e32 v37, v21, v22                                // 000000003048: 164A2D15
	v_max_f32_dpp v4, v35, v35 quad_perm:[1,0,3,2] row_mask:0xf bank_mask:0xf// 00000000304C: 160846FA FF00B123
	v_max_f32_dpp v5, v36, v36 quad_perm:[1,0,3,2] row_mask:0xf bank_mask:0xf// 000000003054: 160A48FA FF00B124
	v_max_f32_dpp v6, v37, v37 quad_perm:[1,0,3,2] row_mask:0xf bank_mask:0xf// 00000000305C: 160C4AFA FF00B125
	v_max_f32_dpp v4, v4, v4 quad_perm:[2,3,0,1] row_mask:0xf bank_mask:0xf// 000000003064: 160808FA FF004E04
	v_max_f32_dpp v5, v5, v5 quad_perm:[2,3,0,1] row_mask:0xf bank_mask:0xf// 00000000306C: 160A0AFA FF004E05
	v_max_f32_dpp v6, v6, v6 quad_perm:[2,3,0,1] row_mask:0xf bank_mask:0xf// 000000003074: 160C0CFA FF004E06
	v_max_f32_dpp v4, v4, v4 row_shr:4 row_mask:0xf bank_mask:0xf// 00000000307C: 160808FA FF011404
	v_max_f32_dpp v5, v5, v5 row_shr:4 row_mask:0xf bank_mask:0xf// 000000003084: 160A0AFA FF011405
	v_max_f32_dpp v6, v6, v6 row_shr:4 row_mask:0xf bank_mask:0xf// 00000000308C: 160C0CFA FF011406
	v_max_f32_dpp v4, v4, v4 row_shr:8 row_mask:0xf bank_mask:0xf// 000000003094: 160808FA FF011804
	v_max_f32_dpp v5, v5, v5 row_shr:8 row_mask:0xf bank_mask:0xf// 00000000309C: 160A0AFA FF011805
	v_max_f32_dpp v6, v6, v6 row_shr:8 row_mask:0xf bank_mask:0xf// 0000000030A4: 160C0CFA FF011806
	v_max_f32_dpp v4, v4, v4 row_bcast:15 row_mask:0xf bank_mask:0xf// 0000000030AC: 160808FA FF014204
	v_max_f32_dpp v5, v5, v5 row_bcast:15 row_mask:0xf bank_mask:0xf// 0000000030B4: 160A0AFA FF014205
	v_max_f32_dpp v6, v6, v6 row_bcast:15 row_mask:0xf bank_mask:0xf// 0000000030BC: 160C0CFA FF014206
	v_max_f32_dpp v4, v4, v4 row_bcast:31 row_mask:0xf bank_mask:0xf// 0000000030C4: 160808FA FF014304
	v_max_f32_dpp v5, v5, v5 row_bcast:31 row_mask:0xf bank_mask:0xf// 0000000030CC: 160A0AFA FF014305
	v_max_f32_dpp v6, v6, v6 row_bcast:31 row_mask:0xf bank_mask:0xf// 0000000030D4: 160C0CFA FF014306
	v_readlane_b32 s20, v4, 63                                 // 0000000030DC: D2890014 00017F04
	v_mov_b32_e32 v35, s20                                     // 0000000030E4: 7E460214
	v_readlane_b32 s21, v5, 63                                 // 0000000030E8: D2890015 00017F05
	v_mov_b32_e32 v36, s21                                     // 0000000030F0: 7E480215
	v_readlane_b32 s22, v6, 63                                 // 0000000030F4: D2890016 00017F06
	v_mov_b32_e32 v37, s22                                     // 0000000030FC: 7E4A0216
	v_add_f32_e32 v41, v41, v35                                // 000000003100: 02524729
	v_add_f32_e32 v42, v42, v36                                // 000000003104: 0254492A
	v_add_f32_e32 v43, v43, v37                                // 000000003108: 02564B2B
	v_cmp_eq_f32_e64 s[24:25], v35, v17                        // 00000000310C: D0420018 00022323
	v_cmp_eq_f32_e64 s[26:27], v35, v18                        // 000000003114: D042001A 00022523
	s_ff1_i32_b64 s36, s[24:25]                                // 00000000311C: BEA41118
	s_ff1_i32_b64 s37, s[26:27]                                // 000000003120: BEA5111A
	v_cmp_eq_f32_e64 s[28:29], v36, v19                        // 000000003124: D042001C 00022724
	v_cmp_eq_f32_e64 s[30:31], v36, v20                        // 00000000312C: D042001E 00022924
	s_ff1_i32_b64 s38, s[28:29]                                // 000000003134: BEA6111C
	s_ff1_i32_b64 s39, s[30:31]                                // 000000003138: BEA7111E
	v_cmp_eq_f32_e64 s[32:33], v37, v21                        // 00000000313C: D0420020 00022B25
	v_cmp_eq_f32_e64 s[34:35], v37, v22                        // 000000003144: D0420022 00022D25
	s_ff1_i32_b64 s40, s[32:33]                                // 00000000314C: BEA81120
	s_ff1_i32_b64 s41, s[34:35]                                // 000000003150: BEA91122
	v_readlane_b32 s20, v35, 0                                 // 000000003154: D2890014 00010123
	v_writelane_b32 v26, s20, 2                                // 00000000315C: D28A001A 00010414
	v_readlane_b32 s21, v36, 0                                 // 000000003164: D2890015 00010124
	v_writelane_b32 v27, s21, 2                                // 00000000316C: D28A001B 00010415
	v_readlane_b32 s22, v37, 0                                 // 000000003174: D2890016 00010125
	v_writelane_b32 v28, s22, 2                                // 00000000317C: D28A001C 00010416
	s_mov_b32 s22, s36                                         // 000000003184: BE960024
	s_cmp_eq_u32 s36, -1                                       // 000000003188: BF06C124
	s_cselect_b32 s21, 1, 0                                    // 00000000318C: 85158081
	s_cbranch_scc0 label_056B                                  // 000000003190: BF840006
	s_add_u32 s50, s21, s50                                    // 000000003194: 80323215
	s_mov_b32 s22, s37                                         // 000000003198: BE960025
	s_cmp_eq_u32 s37, -1                                       // 00000000319C: BF06C125
	s_cselect_b32 s21, 1, 0                                    // 0000000031A0: 85158081
	s_cbranch_scc0 label_056B                                  // 0000000031A4: BF840001
	s_add_u32 s50, s21, s50                                    // 0000000031A8: 80323215

00000000000031ac <label_056B>:
	s_set_gpr_idx_on s50, gpr_idx(DST)                         // 0000000031AC: BF110832
	v_writelane_b32 v17, 0, s22                                // 0000000031B0: D28A0011 00002C80
	s_set_gpr_idx_off                                          // 0000000031B8: BF9C0000
	s_mul_i32 s50, 64, s50                                     // 0000000031BC: 923232C0
	s_add_u32 s50, s22, s50                                    // 0000000031C0: 80323216
	v_writelane_b32 v23, s50, 2                                // 0000000031C4: D28A0017 00010432
	s_mov_b32 s22, s38                                         // 0000000031CC: BE960026
	s_cmp_eq_u32 s38, -1                                       // 0000000031D0: BF06C126
	s_cselect_b32 s21, 1, 0                                    // 0000000031D4: 85158081
	s_cbranch_scc0 label_057D                                  // 0000000031D8: BF840006
	s_add_u32 s56, s21, s56                                    // 0000000031DC: 80383815
	s_mov_b32 s22, s39                                         // 0000000031E0: BE960027
	s_cmp_eq_u32 s39, -1                                       // 0000000031E4: BF06C127
	s_cselect_b32 s21, 1, 0                                    // 0000000031E8: 85158081
	s_cbranch_scc0 label_057D                                  // 0000000031EC: BF840001
	s_add_u32 s56, s21, s56                                    // 0000000031F0: 80383815

00000000000031f4 <label_057D>:
	s_set_gpr_idx_on s56, gpr_idx(DST)                         // 0000000031F4: BF110838
	v_writelane_b32 v19, 0, s22                                // 0000000031F8: D28A0013 00002C80
	s_set_gpr_idx_off                                          // 000000003200: BF9C0000
	s_mul_i32 s56, 64, s56                                     // 000000003204: 923838C0
	s_add_u32 s56, s22, s56                                    // 000000003208: 80383816
	v_writelane_b32 v24, s56, 2                                // 00000000320C: D28A0018 00010438
	s_mov_b32 s22, s40                                         // 000000003214: BE960028
	s_cmp_eq_u32 s40, -1                                       // 000000003218: BF06C128
	s_cselect_b32 s21, 1, 0                                    // 00000000321C: 85158081
	s_cbranch_scc0 label_058F                                  // 000000003220: BF840006
	s_add_u32 s62, s21, s62                                    // 000000003224: 803E3E15
	s_mov_b32 s22, s41                                         // 000000003228: BE960029
	s_cmp_eq_u32 s41, -1                                       // 00000000322C: BF06C129
	s_cselect_b32 s21, 1, 0                                    // 000000003230: 85158081
	s_cbranch_scc0 label_058F                                  // 000000003234: BF840001
	s_add_u32 s62, s21, s62                                    // 000000003238: 803E3E15

000000000000323c <label_058F>:
	s_set_gpr_idx_on s62, gpr_idx(DST)                         // 00000000323C: BF11083E
	v_writelane_b32 v21, 0, s22                                // 000000003240: D28A0015 00002C80
	s_set_gpr_idx_off                                          // 000000003248: BF9C0000
	s_mul_i32 s62, 64, s62                                     // 00000000324C: 923E3EC0
	s_add_u32 s62, s22, s62                                    // 000000003250: 803E3E16
	v_writelane_b32 v25, s62, 2                                // 000000003254: D28A0019 0001043E
	v_max_f32_e32 v35, v17, v18                                // 00000000325C: 16462511
	v_max_f32_e32 v36, v19, v20                                // 000000003260: 16482913
	v_max_f32_e32 v37, v21, v22                                // 000000003264: 164A2D15
	v_max_f32_dpp v4, v35, v35 quad_perm:[1,0,3,2] row_mask:0xf bank_mask:0xf// 000000003268: 160846FA FF00B123
	v_max_f32_dpp v5, v36, v36 quad_perm:[1,0,3,2] row_mask:0xf bank_mask:0xf// 000000003270: 160A48FA FF00B124
	v_max_f32_dpp v6, v37, v37 quad_perm:[1,0,3,2] row_mask:0xf bank_mask:0xf// 000000003278: 160C4AFA FF00B125
	v_max_f32_dpp v4, v4, v4 quad_perm:[2,3,0,1] row_mask:0xf bank_mask:0xf// 000000003280: 160808FA FF004E04
	v_max_f32_dpp v5, v5, v5 quad_perm:[2,3,0,1] row_mask:0xf bank_mask:0xf// 000000003288: 160A0AFA FF004E05
	v_max_f32_dpp v6, v6, v6 quad_perm:[2,3,0,1] row_mask:0xf bank_mask:0xf// 000000003290: 160C0CFA FF004E06
	v_max_f32_dpp v4, v4, v4 row_shr:4 row_mask:0xf bank_mask:0xf// 000000003298: 160808FA FF011404
	v_max_f32_dpp v5, v5, v5 row_shr:4 row_mask:0xf bank_mask:0xf// 0000000032A0: 160A0AFA FF011405
	v_max_f32_dpp v6, v6, v6 row_shr:4 row_mask:0xf bank_mask:0xf// 0000000032A8: 160C0CFA FF011406
	v_max_f32_dpp v4, v4, v4 row_shr:8 row_mask:0xf bank_mask:0xf// 0000000032B0: 160808FA FF011804
	v_max_f32_dpp v5, v5, v5 row_shr:8 row_mask:0xf bank_mask:0xf// 0000000032B8: 160A0AFA FF011805
	v_max_f32_dpp v6, v6, v6 row_shr:8 row_mask:0xf bank_mask:0xf// 0000000032C0: 160C0CFA FF011806
	v_max_f32_dpp v4, v4, v4 row_bcast:15 row_mask:0xf bank_mask:0xf// 0000000032C8: 160808FA FF014204
	v_max_f32_dpp v5, v5, v5 row_bcast:15 row_mask:0xf bank_mask:0xf// 0000000032D0: 160A0AFA FF014205
	v_max_f32_dpp v6, v6, v6 row_bcast:15 row_mask:0xf bank_mask:0xf// 0000000032D8: 160C0CFA FF014206
	v_max_f32_dpp v4, v4, v4 row_bcast:31 row_mask:0xf bank_mask:0xf// 0000000032E0: 160808FA FF014304
	v_max_f32_dpp v5, v5, v5 row_bcast:31 row_mask:0xf bank_mask:0xf// 0000000032E8: 160A0AFA FF014305
	v_max_f32_dpp v6, v6, v6 row_bcast:31 row_mask:0xf bank_mask:0xf// 0000000032F0: 160C0CFA FF014306
	v_readlane_b32 s20, v4, 63                                 // 0000000032F8: D2890014 00017F04
	v_mov_b32_e32 v35, s20                                     // 000000003300: 7E460214
	v_readlane_b32 s21, v5, 63                                 // 000000003304: D2890015 00017F05
	v_mov_b32_e32 v36, s21                                     // 00000000330C: 7E480215
	v_readlane_b32 s22, v6, 63                                 // 000000003310: D2890016 00017F06
	v_mov_b32_e32 v37, s22                                     // 000000003318: 7E4A0216
	v_add_f32_e32 v41, v41, v35                                // 00000000331C: 02524729
	v_add_f32_e32 v42, v42, v36                                // 000000003320: 0254492A
	v_add_f32_e32 v43, v43, v37                                // 000000003324: 02564B2B
	v_cmp_eq_f32_e64 s[24:25], v35, v17                        // 000000003328: D0420018 00022323
	v_cmp_eq_f32_e64 s[26:27], v35, v18                        // 000000003330: D042001A 00022523
	s_ff1_i32_b64 s36, s[24:25]                                // 000000003338: BEA41118
	s_ff1_i32_b64 s37, s[26:27]                                // 00000000333C: BEA5111A
	v_cmp_eq_f32_e64 s[28:29], v36, v19                        // 000000003340: D042001C 00022724
	v_cmp_eq_f32_e64 s[30:31], v36, v20                        // 000000003348: D042001E 00022924
	s_ff1_i32_b64 s38, s[28:29]                                // 000000003350: BEA6111C
	s_ff1_i32_b64 s39, s[30:31]                                // 000000003354: BEA7111E
	v_cmp_eq_f32_e64 s[32:33], v37, v21                        // 000000003358: D0420020 00022B25
	v_cmp_eq_f32_e64 s[34:35], v37, v22                        // 000000003360: D0420022 00022D25
	s_ff1_i32_b64 s40, s[32:33]                                // 000000003368: BEA81120
	s_ff1_i32_b64 s41, s[34:35]                                // 00000000336C: BEA91122
	v_readlane_b32 s20, v35, 0                                 // 000000003370: D2890014 00010123
	v_writelane_b32 v26, s20, 3                                // 000000003378: D28A001A 00010614
	v_readlane_b32 s21, v36, 0                                 // 000000003380: D2890015 00010124
	v_writelane_b32 v27, s21, 3                                // 000000003388: D28A001B 00010615
	v_readlane_b32 s22, v37, 0                                 // 000000003390: D2890016 00010125
	v_writelane_b32 v28, s22, 3                                // 000000003398: D28A001C 00010616
	s_mov_b32 s22, s36                                         // 0000000033A0: BE960024
	s_cmp_eq_u32 s36, -1                                       // 0000000033A4: BF06C124
	s_cselect_b32 s21, 1, 0                                    // 0000000033A8: 85158081
	s_cbranch_scc0 label_05F2                                  // 0000000033AC: BF840006
	s_add_u32 s51, s21, s51                                    // 0000000033B0: 80333315
	s_mov_b32 s22, s37                                         // 0000000033B4: BE960025
	s_cmp_eq_u32 s37, -1                                       // 0000000033B8: BF06C125
	s_cselect_b32 s21, 1, 0                                    // 0000000033BC: 85158081
	s_cbranch_scc0 label_05F2                                  // 0000000033C0: BF840001
	s_add_u32 s51, s21, s51                                    // 0000000033C4: 80333315

00000000000033c8 <label_05F2>:
	s_set_gpr_idx_on s51, gpr_idx(DST)                         // 0000000033C8: BF110833
	v_writelane_b32 v17, 0, s22                                // 0000000033CC: D28A0011 00002C80
	s_set_gpr_idx_off                                          // 0000000033D4: BF9C0000
	s_mul_i32 s51, 64, s51                                     // 0000000033D8: 923333C0
	s_add_u32 s51, s22, s51                                    // 0000000033DC: 80333316
	v_writelane_b32 v23, s51, 3                                // 0000000033E0: D28A0017 00010633
	s_mov_b32 s22, s38                                         // 0000000033E8: BE960026
	s_cmp_eq_u32 s38, -1                                       // 0000000033EC: BF06C126
	s_cselect_b32 s21, 1, 0                                    // 0000000033F0: 85158081
	s_cbranch_scc0 label_0604                                  // 0000000033F4: BF840006
	s_add_u32 s57, s21, s57                                    // 0000000033F8: 80393915
	s_mov_b32 s22, s39                                         // 0000000033FC: BE960027
	s_cmp_eq_u32 s39, -1                                       // 000000003400: BF06C127
	s_cselect_b32 s21, 1, 0                                    // 000000003404: 85158081
	s_cbranch_scc0 label_0604                                  // 000000003408: BF840001
	s_add_u32 s57, s21, s57                                    // 00000000340C: 80393915

0000000000003410 <label_0604>:
	s_set_gpr_idx_on s57, gpr_idx(DST)                         // 000000003410: BF110839
	v_writelane_b32 v19, 0, s22                                // 000000003414: D28A0013 00002C80
	s_set_gpr_idx_off                                          // 00000000341C: BF9C0000
	s_mul_i32 s57, 64, s57                                     // 000000003420: 923939C0
	s_add_u32 s57, s22, s57                                    // 000000003424: 80393916
	v_writelane_b32 v24, s57, 3                                // 000000003428: D28A0018 00010639
	s_mov_b32 s22, s40                                         // 000000003430: BE960028
	s_cmp_eq_u32 s40, -1                                       // 000000003434: BF06C128
	s_cselect_b32 s21, 1, 0                                    // 000000003438: 85158081
	s_cbranch_scc0 label_0616                                  // 00000000343C: BF840006
	s_add_u32 s63, s21, s63                                    // 000000003440: 803F3F15
	s_mov_b32 s22, s41                                         // 000000003444: BE960029
	s_cmp_eq_u32 s41, -1                                       // 000000003448: BF06C129
	s_cselect_b32 s21, 1, 0                                    // 00000000344C: 85158081
	s_cbranch_scc0 label_0616                                  // 000000003450: BF840001
	s_add_u32 s63, s21, s63                                    // 000000003454: 803F3F15

0000000000003458 <label_0616>:
	s_set_gpr_idx_on s63, gpr_idx(DST)                         // 000000003458: BF11083F
	v_writelane_b32 v21, 0, s22                                // 00000000345C: D28A0015 00002C80
	s_set_gpr_idx_off                                          // 000000003464: BF9C0000
	s_mul_i32 s63, 64, s63                                     // 000000003468: 923F3FC0
	s_add_u32 s63, s22, s63                                    // 00000000346C: 803F3F16
	v_writelane_b32 v25, s63, 3                                // 000000003470: D28A0019 0001063F
	v_max_f32_e32 v35, v17, v18                                // 000000003478: 16462511
	v_max_f32_e32 v36, v19, v20                                // 00000000347C: 16482913
	v_max_f32_e32 v37, v21, v22                                // 000000003480: 164A2D15
	v_max_f32_dpp v4, v35, v35 quad_perm:[1,0,3,2] row_mask:0xf bank_mask:0xf// 000000003484: 160846FA FF00B123
	v_max_f32_dpp v5, v36, v36 quad_perm:[1,0,3,2] row_mask:0xf bank_mask:0xf// 00000000348C: 160A48FA FF00B124
	v_max_f32_dpp v6, v37, v37 quad_perm:[1,0,3,2] row_mask:0xf bank_mask:0xf// 000000003494: 160C4AFA FF00B125
	v_max_f32_dpp v4, v4, v4 quad_perm:[2,3,0,1] row_mask:0xf bank_mask:0xf// 00000000349C: 160808FA FF004E04
	v_max_f32_dpp v5, v5, v5 quad_perm:[2,3,0,1] row_mask:0xf bank_mask:0xf// 0000000034A4: 160A0AFA FF004E05
	v_max_f32_dpp v6, v6, v6 quad_perm:[2,3,0,1] row_mask:0xf bank_mask:0xf// 0000000034AC: 160C0CFA FF004E06
	v_max_f32_dpp v4, v4, v4 row_shr:4 row_mask:0xf bank_mask:0xf// 0000000034B4: 160808FA FF011404
	v_max_f32_dpp v5, v5, v5 row_shr:4 row_mask:0xf bank_mask:0xf// 0000000034BC: 160A0AFA FF011405
	v_max_f32_dpp v6, v6, v6 row_shr:4 row_mask:0xf bank_mask:0xf// 0000000034C4: 160C0CFA FF011406
	v_max_f32_dpp v4, v4, v4 row_shr:8 row_mask:0xf bank_mask:0xf// 0000000034CC: 160808FA FF011804
	v_max_f32_dpp v5, v5, v5 row_shr:8 row_mask:0xf bank_mask:0xf// 0000000034D4: 160A0AFA FF011805
	v_max_f32_dpp v6, v6, v6 row_shr:8 row_mask:0xf bank_mask:0xf// 0000000034DC: 160C0CFA FF011806
	v_max_f32_dpp v4, v4, v4 row_bcast:15 row_mask:0xf bank_mask:0xf// 0000000034E4: 160808FA FF014204
	v_max_f32_dpp v5, v5, v5 row_bcast:15 row_mask:0xf bank_mask:0xf// 0000000034EC: 160A0AFA FF014205
	v_max_f32_dpp v6, v6, v6 row_bcast:15 row_mask:0xf bank_mask:0xf// 0000000034F4: 160C0CFA FF014206
	v_max_f32_dpp v4, v4, v4 row_bcast:31 row_mask:0xf bank_mask:0xf// 0000000034FC: 160808FA FF014304
	v_max_f32_dpp v5, v5, v5 row_bcast:31 row_mask:0xf bank_mask:0xf// 000000003504: 160A0AFA FF014305
	v_max_f32_dpp v6, v6, v6 row_bcast:31 row_mask:0xf bank_mask:0xf// 00000000350C: 160C0CFA FF014306
	v_readlane_b32 s20, v4, 63                                 // 000000003514: D2890014 00017F04
	v_mov_b32_e32 v35, s20                                     // 00000000351C: 7E460214
	v_readlane_b32 s21, v5, 63                                 // 000000003520: D2890015 00017F05
	v_mov_b32_e32 v36, s21                                     // 000000003528: 7E480215
	v_readlane_b32 s22, v6, 63                                 // 00000000352C: D2890016 00017F06
	v_mov_b32_e32 v37, s22                                     // 000000003534: 7E4A0216
	v_add_f32_e32 v41, v41, v35                                // 000000003538: 02524729
	v_add_f32_e32 v42, v42, v36                                // 00000000353C: 0254492A
	v_add_f32_e32 v43, v43, v37                                // 000000003540: 02564B2B
	v_cmp_eq_f32_e64 s[24:25], v35, v17                        // 000000003544: D0420018 00022323
	v_cmp_eq_f32_e64 s[26:27], v35, v18                        // 00000000354C: D042001A 00022523
	s_ff1_i32_b64 s36, s[24:25]                                // 000000003554: BEA41118
	s_ff1_i32_b64 s37, s[26:27]                                // 000000003558: BEA5111A
	v_cmp_eq_f32_e64 s[28:29], v36, v19                        // 00000000355C: D042001C 00022724
	v_cmp_eq_f32_e64 s[30:31], v36, v20                        // 000000003564: D042001E 00022924
	s_ff1_i32_b64 s38, s[28:29]                                // 00000000356C: BEA6111C
	s_ff1_i32_b64 s39, s[30:31]                                // 000000003570: BEA7111E
	v_cmp_eq_f32_e64 s[32:33], v37, v21                        // 000000003574: D0420020 00022B25
	v_cmp_eq_f32_e64 s[34:35], v37, v22                        // 00000000357C: D0420022 00022D25
	s_ff1_i32_b64 s40, s[32:33]                                // 000000003584: BEA81120
	s_ff1_i32_b64 s41, s[34:35]                                // 000000003588: BEA91122
	v_readlane_b32 s20, v35, 0                                 // 00000000358C: D2890014 00010123
	v_writelane_b32 v26, s20, 4                                // 000000003594: D28A001A 00010814
	v_readlane_b32 s21, v36, 0                                 // 00000000359C: D2890015 00010124
	v_writelane_b32 v27, s21, 4                                // 0000000035A4: D28A001B 00010815
	v_readlane_b32 s22, v37, 0                                 // 0000000035AC: D2890016 00010125
	v_writelane_b32 v28, s22, 4                                // 0000000035B4: D28A001C 00010816
	s_mov_b32 s22, s36                                         // 0000000035BC: BE960024
	s_cmp_eq_u32 s36, -1                                       // 0000000035C0: BF06C124
	s_cselect_b32 s21, 1, 0                                    // 0000000035C4: 85158081
	s_cbranch_scc0 label_0679                                  // 0000000035C8: BF840006
	s_add_u32 s52, s21, s52                                    // 0000000035CC: 80343415
	s_mov_b32 s22, s37                                         // 0000000035D0: BE960025
	s_cmp_eq_u32 s37, -1                                       // 0000000035D4: BF06C125
	s_cselect_b32 s21, 1, 0                                    // 0000000035D8: 85158081
	s_cbranch_scc0 label_0679                                  // 0000000035DC: BF840001
	s_add_u32 s52, s21, s52                                    // 0000000035E0: 80343415

00000000000035e4 <label_0679>:
	s_set_gpr_idx_on s52, gpr_idx(DST)                         // 0000000035E4: BF110834
	v_writelane_b32 v17, 0, s22                                // 0000000035E8: D28A0011 00002C80
	s_set_gpr_idx_off                                          // 0000000035F0: BF9C0000
	s_mul_i32 s52, 64, s52                                     // 0000000035F4: 923434C0
	s_add_u32 s52, s22, s52                                    // 0000000035F8: 80343416
	v_writelane_b32 v23, s52, 4                                // 0000000035FC: D28A0017 00010834
	s_mov_b32 s22, s38                                         // 000000003604: BE960026
	s_cmp_eq_u32 s38, -1                                       // 000000003608: BF06C126
	s_cselect_b32 s21, 1, 0                                    // 00000000360C: 85158081
	s_cbranch_scc0 label_068B                                  // 000000003610: BF840006
	s_add_u32 s58, s21, s58                                    // 000000003614: 803A3A15
	s_mov_b32 s22, s39                                         // 000000003618: BE960027
	s_cmp_eq_u32 s39, -1                                       // 00000000361C: BF06C127
	s_cselect_b32 s21, 1, 0                                    // 000000003620: 85158081
	s_cbranch_scc0 label_068B                                  // 000000003624: BF840001
	s_add_u32 s58, s21, s58                                    // 000000003628: 803A3A15

000000000000362c <label_068B>:
	s_set_gpr_idx_on s58, gpr_idx(DST)                         // 00000000362C: BF11083A
	v_writelane_b32 v19, 0, s22                                // 000000003630: D28A0013 00002C80
	s_set_gpr_idx_off                                          // 000000003638: BF9C0000
	s_mul_i32 s58, 64, s58                                     // 00000000363C: 923A3AC0
	s_add_u32 s58, s22, s58                                    // 000000003640: 803A3A16
	v_writelane_b32 v24, s58, 4                                // 000000003644: D28A0018 0001083A
	s_mov_b32 s22, s40                                         // 00000000364C: BE960028
	s_cmp_eq_u32 s40, -1                                       // 000000003650: BF06C128
	s_cselect_b32 s21, 1, 0                                    // 000000003654: 85158081
	s_cbranch_scc0 label_069D                                  // 000000003658: BF840006
	s_add_u32 s64, s21, s64                                    // 00000000365C: 80404015
	s_mov_b32 s22, s41                                         // 000000003660: BE960029
	s_cmp_eq_u32 s41, -1                                       // 000000003664: BF06C129
	s_cselect_b32 s21, 1, 0                                    // 000000003668: 85158081
	s_cbranch_scc0 label_069D                                  // 00000000366C: BF840001
	s_add_u32 s64, s21, s64                                    // 000000003670: 80404015

0000000000003674 <label_069D>:
	s_set_gpr_idx_on s64, gpr_idx(DST)                         // 000000003674: BF110840
	v_writelane_b32 v21, 0, s22                                // 000000003678: D28A0015 00002C80
	s_set_gpr_idx_off                                          // 000000003680: BF9C0000
	s_mul_i32 s64, 64, s64                                     // 000000003684: 924040C0
	s_add_u32 s64, s22, s64                                    // 000000003688: 80404016
	v_writelane_b32 v25, s64, 4                                // 00000000368C: D28A0019 00010840
	v_max_f32_e32 v35, v17, v18                                // 000000003694: 16462511
	v_max_f32_e32 v36, v19, v20                                // 000000003698: 16482913
	v_max_f32_e32 v37, v21, v22                                // 00000000369C: 164A2D15
	v_max_f32_dpp v4, v35, v35 quad_perm:[1,0,3,2] row_mask:0xf bank_mask:0xf// 0000000036A0: 160846FA FF00B123
	v_max_f32_dpp v5, v36, v36 quad_perm:[1,0,3,2] row_mask:0xf bank_mask:0xf// 0000000036A8: 160A48FA FF00B124
	v_max_f32_dpp v6, v37, v37 quad_perm:[1,0,3,2] row_mask:0xf bank_mask:0xf// 0000000036B0: 160C4AFA FF00B125
	v_max_f32_dpp v4, v4, v4 quad_perm:[2,3,0,1] row_mask:0xf bank_mask:0xf// 0000000036B8: 160808FA FF004E04
	v_max_f32_dpp v5, v5, v5 quad_perm:[2,3,0,1] row_mask:0xf bank_mask:0xf// 0000000036C0: 160A0AFA FF004E05
	v_max_f32_dpp v6, v6, v6 quad_perm:[2,3,0,1] row_mask:0xf bank_mask:0xf// 0000000036C8: 160C0CFA FF004E06
	v_max_f32_dpp v4, v4, v4 row_shr:4 row_mask:0xf bank_mask:0xf// 0000000036D0: 160808FA FF011404
	v_max_f32_dpp v5, v5, v5 row_shr:4 row_mask:0xf bank_mask:0xf// 0000000036D8: 160A0AFA FF011405
	v_max_f32_dpp v6, v6, v6 row_shr:4 row_mask:0xf bank_mask:0xf// 0000000036E0: 160C0CFA FF011406
	v_max_f32_dpp v4, v4, v4 row_shr:8 row_mask:0xf bank_mask:0xf// 0000000036E8: 160808FA FF011804
	v_max_f32_dpp v5, v5, v5 row_shr:8 row_mask:0xf bank_mask:0xf// 0000000036F0: 160A0AFA FF011805
	v_max_f32_dpp v6, v6, v6 row_shr:8 row_mask:0xf bank_mask:0xf// 0000000036F8: 160C0CFA FF011806
	v_max_f32_dpp v4, v4, v4 row_bcast:15 row_mask:0xf bank_mask:0xf// 000000003700: 160808FA FF014204
	v_max_f32_dpp v5, v5, v5 row_bcast:15 row_mask:0xf bank_mask:0xf// 000000003708: 160A0AFA FF014205
	v_max_f32_dpp v6, v6, v6 row_bcast:15 row_mask:0xf bank_mask:0xf// 000000003710: 160C0CFA FF014206
	v_max_f32_dpp v4, v4, v4 row_bcast:31 row_mask:0xf bank_mask:0xf// 000000003718: 160808FA FF014304
	v_max_f32_dpp v5, v5, v5 row_bcast:31 row_mask:0xf bank_mask:0xf// 000000003720: 160A0AFA FF014305
	v_max_f32_dpp v6, v6, v6 row_bcast:31 row_mask:0xf bank_mask:0xf// 000000003728: 160C0CFA FF014306
	v_readlane_b32 s20, v4, 63                                 // 000000003730: D2890014 00017F04
	v_mov_b32_e32 v35, s20                                     // 000000003738: 7E460214
	v_readlane_b32 s21, v5, 63                                 // 00000000373C: D2890015 00017F05
	v_mov_b32_e32 v36, s21                                     // 000000003744: 7E480215
	v_readlane_b32 s22, v6, 63                                 // 000000003748: D2890016 00017F06
	v_mov_b32_e32 v37, s22                                     // 000000003750: 7E4A0216
	v_add_f32_e32 v41, v41, v35                                // 000000003754: 02524729
	v_add_f32_e32 v42, v42, v36                                // 000000003758: 0254492A
	v_add_f32_e32 v43, v43, v37                                // 00000000375C: 02564B2B
	v_cmp_eq_f32_e64 s[24:25], v35, v17                        // 000000003760: D0420018 00022323
	v_cmp_eq_f32_e64 s[26:27], v35, v18                        // 000000003768: D042001A 00022523
	s_ff1_i32_b64 s36, s[24:25]                                // 000000003770: BEA41118
	s_ff1_i32_b64 s37, s[26:27]                                // 000000003774: BEA5111A
	v_cmp_eq_f32_e64 s[28:29], v36, v19                        // 000000003778: D042001C 00022724
	v_cmp_eq_f32_e64 s[30:31], v36, v20                        // 000000003780: D042001E 00022924
	s_ff1_i32_b64 s38, s[28:29]                                // 000000003788: BEA6111C
	s_ff1_i32_b64 s39, s[30:31]                                // 00000000378C: BEA7111E
	v_cmp_eq_f32_e64 s[32:33], v37, v21                        // 000000003790: D0420020 00022B25
	v_cmp_eq_f32_e64 s[34:35], v37, v22                        // 000000003798: D0420022 00022D25
	s_ff1_i32_b64 s40, s[32:33]                                // 0000000037A0: BEA81120
	s_ff1_i32_b64 s41, s[34:35]                                // 0000000037A4: BEA91122
	v_readlane_b32 s20, v35, 0                                 // 0000000037A8: D2890014 00010123
	v_writelane_b32 v26, s20, 5                                // 0000000037B0: D28A001A 00010A14
	v_readlane_b32 s21, v36, 0                                 // 0000000037B8: D2890015 00010124
	v_writelane_b32 v27, s21, 5                                // 0000000037C0: D28A001B 00010A15
	v_readlane_b32 s22, v37, 0                                 // 0000000037C8: D2890016 00010125
	v_writelane_b32 v28, s22, 5                                // 0000000037D0: D28A001C 00010A16
	s_mov_b32 s22, s36                                         // 0000000037D8: BE960024
	s_cmp_eq_u32 s36, -1                                       // 0000000037DC: BF06C124
	s_cselect_b32 s21, 1, 0                                    // 0000000037E0: 85158081
	s_cbranch_scc0 label_0700                                  // 0000000037E4: BF840006
	s_add_u32 s53, s21, s53                                    // 0000000037E8: 80353515
	s_mov_b32 s22, s37                                         // 0000000037EC: BE960025
	s_cmp_eq_u32 s37, -1                                       // 0000000037F0: BF06C125
	s_cselect_b32 s21, 1, 0                                    // 0000000037F4: 85158081
	s_cbranch_scc0 label_0700                                  // 0000000037F8: BF840001
	s_add_u32 s53, s21, s53                                    // 0000000037FC: 80353515

0000000000003800 <label_0700>:
	s_set_gpr_idx_on s53, gpr_idx(DST)                         // 000000003800: BF110835
	v_writelane_b32 v17, 0, s22                                // 000000003804: D28A0011 00002C80
	s_set_gpr_idx_off                                          // 00000000380C: BF9C0000
	s_mul_i32 s53, 64, s53                                     // 000000003810: 923535C0
	s_add_u32 s53, s22, s53                                    // 000000003814: 80353516
	v_writelane_b32 v23, s53, 5                                // 000000003818: D28A0017 00010A35
	s_mov_b32 s22, s38                                         // 000000003820: BE960026
	s_cmp_eq_u32 s38, -1                                       // 000000003824: BF06C126
	s_cselect_b32 s21, 1, 0                                    // 000000003828: 85158081
	s_cbranch_scc0 label_0712                                  // 00000000382C: BF840006
	s_add_u32 s59, s21, s59                                    // 000000003830: 803B3B15
	s_mov_b32 s22, s39                                         // 000000003834: BE960027
	s_cmp_eq_u32 s39, -1                                       // 000000003838: BF06C127
	s_cselect_b32 s21, 1, 0                                    // 00000000383C: 85158081
	s_cbranch_scc0 label_0712                                  // 000000003840: BF840001
	s_add_u32 s59, s21, s59                                    // 000000003844: 803B3B15

0000000000003848 <label_0712>:
	s_set_gpr_idx_on s59, gpr_idx(DST)                         // 000000003848: BF11083B
	v_writelane_b32 v19, 0, s22                                // 00000000384C: D28A0013 00002C80
	s_set_gpr_idx_off                                          // 000000003854: BF9C0000
	s_mul_i32 s59, 64, s59                                     // 000000003858: 923B3BC0
	s_add_u32 s59, s22, s59                                    // 00000000385C: 803B3B16
	v_writelane_b32 v24, s59, 5                                // 000000003860: D28A0018 00010A3B
	s_mov_b32 s22, s40                                         // 000000003868: BE960028
	s_cmp_eq_u32 s40, -1                                       // 00000000386C: BF06C128
	s_cselect_b32 s21, 1, 0                                    // 000000003870: 85158081
	s_cbranch_scc0 label_0724                                  // 000000003874: BF840006
	s_add_u32 s65, s21, s65                                    // 000000003878: 80414115
	s_mov_b32 s22, s41                                         // 00000000387C: BE960029
	s_cmp_eq_u32 s41, -1                                       // 000000003880: BF06C129
	s_cselect_b32 s21, 1, 0                                    // 000000003884: 85158081
	s_cbranch_scc0 label_0724                                  // 000000003888: BF840001
	s_add_u32 s65, s21, s65                                    // 00000000388C: 80414115

0000000000003890 <label_0724>:
	s_set_gpr_idx_on s65, gpr_idx(DST)                         // 000000003890: BF110841
	v_writelane_b32 v21, 0, s22                                // 000000003894: D28A0015 00002C80
	s_set_gpr_idx_off                                          // 00000000389C: BF9C0000
	s_mul_i32 s65, 64, s65                                     // 0000000038A0: 924141C0
	s_add_u32 s65, s22, s65                                    // 0000000038A4: 80414116
	v_writelane_b32 v25, s65, 5                                // 0000000038A8: D28A0019 00010A41
	s_bfm_b64 exec, s18, 0                                     // 0000000038B0: 91FE8012
	buffer_store_dword v23, v11, s[4:7], 0 offen               // 0000000038B4: E0701000 8001170B
	buffer_store_dword v24, v12, s[4:7], 0 offen               // 0000000038BC: E0701000 8001180C
	buffer_store_dword v25, v13, s[4:7], 0 offen               // 0000000038C4: E0701000 8001190D
	v_rcp_f32_e32 v41, v41                                     // 0000000038CC: 7E524529
	v_rcp_f32_e32 v42, v42                                     // 0000000038D0: 7E54452A
	v_rcp_f32_e32 v43, v43                                     // 0000000038D4: 7E56452B
	v_mul_f32_e32 v26, v26, v41                                // 0000000038D8: 0A34531A
	v_mul_f32_e32 v27, v27, v42                                // 0000000038DC: 0A36551B
	v_mul_f32_e32 v28, v28, v43                                // 0000000038E0: 0A38571C
	buffer_store_dword v26, v14, s[8:11], 0 offen              // 0000000038E4: E0701000 80021A0E
	buffer_store_dword v27, v15, s[8:11], 0 offen              // 0000000038EC: E0701000 80021B0F
	buffer_store_dword v28, v16, s[8:11], 0 offen              // 0000000038F4: E0701000 80021C10

00000000000038fc <label_073F>:
	s_waitcnt vmcnt(0) expcnt(0) lgkmcnt(0)                    // 0000000038FC: BF8C0000
	s_endpgm                                                   // 000000003900: BF810000
